;; amdgpu-corpus repo=ROCm/rocFFT kind=compiled arch=gfx906 opt=O3
	.text
	.amdgcn_target "amdgcn-amd-amdhsa--gfx906"
	.amdhsa_code_object_version 6
	.protected	fft_rtc_fwd_len2880_factors_10_6_6_2_2_2_wgs_96_tpt_96_halfLds_dp_op_CI_CI_unitstride_sbrr_R2C_dirReg ; -- Begin function fft_rtc_fwd_len2880_factors_10_6_6_2_2_2_wgs_96_tpt_96_halfLds_dp_op_CI_CI_unitstride_sbrr_R2C_dirReg
	.globl	fft_rtc_fwd_len2880_factors_10_6_6_2_2_2_wgs_96_tpt_96_halfLds_dp_op_CI_CI_unitstride_sbrr_R2C_dirReg
	.p2align	8
	.type	fft_rtc_fwd_len2880_factors_10_6_6_2_2_2_wgs_96_tpt_96_halfLds_dp_op_CI_CI_unitstride_sbrr_R2C_dirReg,@function
fft_rtc_fwd_len2880_factors_10_6_6_2_2_2_wgs_96_tpt_96_halfLds_dp_op_CI_CI_unitstride_sbrr_R2C_dirReg: ; @fft_rtc_fwd_len2880_factors_10_6_6_2_2_2_wgs_96_tpt_96_halfLds_dp_op_CI_CI_unitstride_sbrr_R2C_dirReg
; %bb.0:
	s_load_dwordx4 s[8:11], s[4:5], 0x58
	s_load_dwordx4 s[12:15], s[4:5], 0x0
	;; [unrolled: 1-line block ×3, first 2 shown]
	v_mul_u32_u24_e32 v1, 0x2ab, v0
	v_add_u32_sdwa v5, s6, v1 dst_sel:DWORD dst_unused:UNUSED_PAD src0_sel:DWORD src1_sel:WORD_1
	v_mov_b32_e32 v3, 0
	s_waitcnt lgkmcnt(0)
	v_cmp_lt_u64_e64 s[0:1], s[14:15], 2
	v_mov_b32_e32 v1, 0
	v_mov_b32_e32 v6, v3
	s_and_b64 vcc, exec, s[0:1]
	v_mov_b32_e32 v2, 0
	s_cbranch_vccnz .LBB0_8
; %bb.1:
	s_load_dwordx2 s[0:1], s[4:5], 0x10
	s_add_u32 s2, s18, 8
	s_addc_u32 s3, s19, 0
	s_add_u32 s6, s16, 8
	v_mov_b32_e32 v1, 0
	s_addc_u32 s7, s17, 0
	v_mov_b32_e32 v2, 0
	s_waitcnt lgkmcnt(0)
	s_add_u32 s20, s0, 8
	v_mov_b32_e32 v91, v2
	s_addc_u32 s21, s1, 0
	s_mov_b64 s[22:23], 1
	v_mov_b32_e32 v90, v1
.LBB0_2:                                ; =>This Inner Loop Header: Depth=1
	s_load_dwordx2 s[24:25], s[20:21], 0x0
                                        ; implicit-def: $vgpr92_vgpr93
	s_waitcnt lgkmcnt(0)
	v_or_b32_e32 v4, s25, v6
	v_cmp_ne_u64_e32 vcc, 0, v[3:4]
	s_and_saveexec_b64 s[0:1], vcc
	s_xor_b64 s[26:27], exec, s[0:1]
	s_cbranch_execz .LBB0_4
; %bb.3:                                ;   in Loop: Header=BB0_2 Depth=1
	v_cvt_f32_u32_e32 v4, s24
	v_cvt_f32_u32_e32 v7, s25
	s_sub_u32 s0, 0, s24
	s_subb_u32 s1, 0, s25
	v_mac_f32_e32 v4, 0x4f800000, v7
	v_rcp_f32_e32 v4, v4
	v_mul_f32_e32 v4, 0x5f7ffffc, v4
	v_mul_f32_e32 v7, 0x2f800000, v4
	v_trunc_f32_e32 v7, v7
	v_mac_f32_e32 v4, 0xcf800000, v7
	v_cvt_u32_f32_e32 v7, v7
	v_cvt_u32_f32_e32 v4, v4
	v_mul_lo_u32 v8, s0, v7
	v_mul_hi_u32 v9, s0, v4
	v_mul_lo_u32 v11, s1, v4
	v_mul_lo_u32 v10, s0, v4
	v_add_u32_e32 v8, v9, v8
	v_add_u32_e32 v8, v8, v11
	v_mul_hi_u32 v9, v4, v10
	v_mul_lo_u32 v11, v4, v8
	v_mul_hi_u32 v13, v4, v8
	v_mul_hi_u32 v12, v7, v10
	v_mul_lo_u32 v10, v7, v10
	v_mul_hi_u32 v14, v7, v8
	v_add_co_u32_e32 v9, vcc, v9, v11
	v_addc_co_u32_e32 v11, vcc, 0, v13, vcc
	v_mul_lo_u32 v8, v7, v8
	v_add_co_u32_e32 v9, vcc, v9, v10
	v_addc_co_u32_e32 v9, vcc, v11, v12, vcc
	v_addc_co_u32_e32 v10, vcc, 0, v14, vcc
	v_add_co_u32_e32 v8, vcc, v9, v8
	v_addc_co_u32_e32 v9, vcc, 0, v10, vcc
	v_add_co_u32_e32 v4, vcc, v4, v8
	v_addc_co_u32_e32 v7, vcc, v7, v9, vcc
	v_mul_lo_u32 v8, s0, v7
	v_mul_hi_u32 v9, s0, v4
	v_mul_lo_u32 v10, s1, v4
	v_mul_lo_u32 v11, s0, v4
	v_add_u32_e32 v8, v9, v8
	v_add_u32_e32 v8, v8, v10
	v_mul_lo_u32 v12, v4, v8
	v_mul_hi_u32 v13, v4, v11
	v_mul_hi_u32 v14, v4, v8
	v_mul_hi_u32 v10, v7, v11
	v_mul_lo_u32 v11, v7, v11
	v_mul_hi_u32 v9, v7, v8
	v_add_co_u32_e32 v12, vcc, v13, v12
	v_addc_co_u32_e32 v13, vcc, 0, v14, vcc
	v_mul_lo_u32 v8, v7, v8
	v_add_co_u32_e32 v11, vcc, v12, v11
	v_addc_co_u32_e32 v10, vcc, v13, v10, vcc
	v_addc_co_u32_e32 v9, vcc, 0, v9, vcc
	v_add_co_u32_e32 v8, vcc, v10, v8
	v_addc_co_u32_e32 v9, vcc, 0, v9, vcc
	v_add_co_u32_e32 v4, vcc, v4, v8
	v_addc_co_u32_e32 v9, vcc, v7, v9, vcc
	v_mad_u64_u32 v[7:8], s[0:1], v5, v9, 0
	v_mul_hi_u32 v10, v5, v4
	v_add_co_u32_e32 v11, vcc, v10, v7
	v_addc_co_u32_e32 v12, vcc, 0, v8, vcc
	v_mad_u64_u32 v[7:8], s[0:1], v6, v4, 0
	v_mad_u64_u32 v[9:10], s[0:1], v6, v9, 0
	v_add_co_u32_e32 v4, vcc, v11, v7
	v_addc_co_u32_e32 v4, vcc, v12, v8, vcc
	v_addc_co_u32_e32 v7, vcc, 0, v10, vcc
	v_add_co_u32_e32 v4, vcc, v4, v9
	v_addc_co_u32_e32 v9, vcc, 0, v7, vcc
	v_mul_lo_u32 v10, s25, v4
	v_mul_lo_u32 v11, s24, v9
	v_mad_u64_u32 v[7:8], s[0:1], s24, v4, 0
	v_add3_u32 v8, v8, v11, v10
	v_sub_u32_e32 v10, v6, v8
	v_mov_b32_e32 v11, s25
	v_sub_co_u32_e32 v7, vcc, v5, v7
	v_subb_co_u32_e64 v10, s[0:1], v10, v11, vcc
	v_subrev_co_u32_e64 v11, s[0:1], s24, v7
	v_subbrev_co_u32_e64 v10, s[0:1], 0, v10, s[0:1]
	v_cmp_le_u32_e64 s[0:1], s25, v10
	v_cndmask_b32_e64 v12, 0, -1, s[0:1]
	v_cmp_le_u32_e64 s[0:1], s24, v11
	v_cndmask_b32_e64 v11, 0, -1, s[0:1]
	v_cmp_eq_u32_e64 s[0:1], s25, v10
	v_cndmask_b32_e64 v10, v12, v11, s[0:1]
	v_add_co_u32_e64 v11, s[0:1], 2, v4
	v_addc_co_u32_e64 v12, s[0:1], 0, v9, s[0:1]
	v_add_co_u32_e64 v13, s[0:1], 1, v4
	v_addc_co_u32_e64 v14, s[0:1], 0, v9, s[0:1]
	v_subb_co_u32_e32 v8, vcc, v6, v8, vcc
	v_cmp_ne_u32_e64 s[0:1], 0, v10
	v_cmp_le_u32_e32 vcc, s25, v8
	v_cndmask_b32_e64 v10, v14, v12, s[0:1]
	v_cndmask_b32_e64 v12, 0, -1, vcc
	v_cmp_le_u32_e32 vcc, s24, v7
	v_cndmask_b32_e64 v7, 0, -1, vcc
	v_cmp_eq_u32_e32 vcc, s25, v8
	v_cndmask_b32_e32 v7, v12, v7, vcc
	v_cmp_ne_u32_e32 vcc, 0, v7
	v_cndmask_b32_e64 v7, v13, v11, s[0:1]
	v_cndmask_b32_e32 v93, v9, v10, vcc
	v_cndmask_b32_e32 v92, v4, v7, vcc
.LBB0_4:                                ;   in Loop: Header=BB0_2 Depth=1
	s_andn2_saveexec_b64 s[0:1], s[26:27]
	s_cbranch_execz .LBB0_6
; %bb.5:                                ;   in Loop: Header=BB0_2 Depth=1
	v_cvt_f32_u32_e32 v4, s24
	s_sub_i32 s26, 0, s24
	v_mov_b32_e32 v93, v3
	v_rcp_iflag_f32_e32 v4, v4
	v_mul_f32_e32 v4, 0x4f7ffffe, v4
	v_cvt_u32_f32_e32 v4, v4
	v_mul_lo_u32 v7, s26, v4
	v_mul_hi_u32 v7, v4, v7
	v_add_u32_e32 v4, v4, v7
	v_mul_hi_u32 v4, v5, v4
	v_mul_lo_u32 v7, v4, s24
	v_add_u32_e32 v8, 1, v4
	v_sub_u32_e32 v7, v5, v7
	v_subrev_u32_e32 v9, s24, v7
	v_cmp_le_u32_e32 vcc, s24, v7
	v_cndmask_b32_e32 v7, v7, v9, vcc
	v_cndmask_b32_e32 v4, v4, v8, vcc
	v_add_u32_e32 v8, 1, v4
	v_cmp_le_u32_e32 vcc, s24, v7
	v_cndmask_b32_e32 v92, v4, v8, vcc
.LBB0_6:                                ;   in Loop: Header=BB0_2 Depth=1
	s_or_b64 exec, exec, s[0:1]
	v_mul_lo_u32 v4, v93, s24
	v_mul_lo_u32 v9, v92, s25
	v_mad_u64_u32 v[7:8], s[0:1], v92, s24, 0
	s_load_dwordx2 s[0:1], s[6:7], 0x0
	s_load_dwordx2 s[24:25], s[2:3], 0x0
	v_add3_u32 v4, v8, v9, v4
	v_sub_co_u32_e32 v5, vcc, v5, v7
	v_subb_co_u32_e32 v4, vcc, v6, v4, vcc
	s_waitcnt lgkmcnt(0)
	v_mul_lo_u32 v6, s0, v4
	v_mul_lo_u32 v7, s1, v5
	v_mad_u64_u32 v[1:2], s[0:1], s0, v5, v[1:2]
	v_mul_lo_u32 v4, s24, v4
	v_mul_lo_u32 v8, s25, v5
	v_mad_u64_u32 v[90:91], s[0:1], s24, v5, v[90:91]
	s_add_u32 s22, s22, 1
	s_addc_u32 s23, s23, 0
	s_add_u32 s2, s2, 8
	v_add3_u32 v91, v8, v91, v4
	s_addc_u32 s3, s3, 0
	v_mov_b32_e32 v4, s14
	s_add_u32 s6, s6, 8
	v_mov_b32_e32 v5, s15
	s_addc_u32 s7, s7, 0
	v_cmp_ge_u64_e32 vcc, s[22:23], v[4:5]
	s_add_u32 s20, s20, 8
	v_add3_u32 v2, v7, v2, v6
	s_addc_u32 s21, s21, 0
	s_cbranch_vccnz .LBB0_9
; %bb.7:                                ;   in Loop: Header=BB0_2 Depth=1
	v_mov_b32_e32 v5, v92
	v_mov_b32_e32 v6, v93
	s_branch .LBB0_2
.LBB0_8:
	v_mov_b32_e32 v91, v2
	v_mov_b32_e32 v93, v6
	;; [unrolled: 1-line block ×4, first 2 shown]
.LBB0_9:
	s_load_dwordx2 s[4:5], s[4:5], 0x28
	s_lshl_b64 s[6:7], s[14:15], 3
	s_add_u32 s2, s18, s6
	s_addc_u32 s3, s19, s7
                                        ; implicit-def: $vgpr88
                                        ; implicit-def: $vgpr96
                                        ; implicit-def: $vgpr94
                                        ; implicit-def: $vgpr118
                                        ; implicit-def: $vgpr108
                                        ; implicit-def: $vgpr120
                                        ; implicit-def: $vgpr114
                                        ; implicit-def: $vgpr116
                                        ; implicit-def: $vgpr112
                                        ; implicit-def: $vgpr100
                                        ; implicit-def: $vgpr110
                                        ; implicit-def: $vgpr106
                                        ; implicit-def: $vgpr98
                                        ; implicit-def: $vgpr102
                                        ; implicit-def: $vgpr104
	s_waitcnt lgkmcnt(0)
	v_cmp_gt_u64_e64 s[0:1], s[4:5], v[92:93]
	v_cmp_le_u64_e32 vcc, s[4:5], v[92:93]
	s_and_saveexec_b64 s[4:5], vcc
	s_xor_b64 s[4:5], exec, s[4:5]
	s_cbranch_execz .LBB0_11
; %bb.10:
	s_mov_b32 s14, 0x2aaaaab
	v_mul_hi_u32 v1, v0, s14
	v_mov_b32_e32 v89, 0
	v_mov_b32_e32 v97, v89
	;; [unrolled: 1-line block ×3, first 2 shown]
	v_mul_u32_u24_e32 v1, 0x60, v1
	v_sub_u32_e32 v88, v0, v1
	v_add_u32_e32 v96, 0x60, v88
	v_add_u32_e32 v94, 0xc0, v88
	;; [unrolled: 1-line block ×5, first 2 shown]
	v_or_b32_e32 v114, 0x180, v88
	v_add_u32_e32 v116, 0x240, v88
	v_add_u32_e32 v112, 0x2a0, v88
	v_or_b32_e32 v100, 0x300, v88
	v_add_u32_e32 v110, 0x360, v88
	v_add_u32_e32 v106, 0x420, v88
	v_or_b32_e32 v98, 0x480, v88
	v_add_u32_e32 v102, 0x4e0, v88
	v_mov_b32_e32 v121, v89
	v_mov_b32_e32 v115, v89
	;; [unrolled: 1-line block ×11, first 2 shown]
	v_add_u32_e32 v104, 0x540, v88
	v_mov_b32_e32 v105, v89
                                        ; implicit-def: $vgpr0
                                        ; implicit-def: $vgpr1_vgpr2
.LBB0_11:
	s_andn2_saveexec_b64 s[4:5], s[4:5]
	s_cbranch_execz .LBB0_13
; %bb.12:
	s_add_u32 s6, s16, s6
	s_addc_u32 s7, s17, s7
	s_load_dwordx2 s[6:7], s[6:7], 0x0
	s_mov_b32 s14, 0x2aaaaab
	v_mul_hi_u32 v5, v0, s14
	s_waitcnt lgkmcnt(0)
	v_mul_lo_u32 v6, s7, v92
	v_mul_lo_u32 v7, s6, v93
	v_mad_u64_u32 v[3:4], s[6:7], s6, v92, 0
	v_mul_u32_u24_e32 v5, 0x60, v5
	v_sub_u32_e32 v88, v0, v5
	v_add3_u32 v4, v4, v7, v6
	v_lshlrev_b64 v[3:4], 4, v[3:4]
	v_mov_b32_e32 v0, s9
	v_add_co_u32_e32 v3, vcc, s8, v3
	v_addc_co_u32_e32 v4, vcc, v0, v4, vcc
	v_lshlrev_b64 v[0:1], 4, v[1:2]
	v_lshlrev_b32_e32 v113, 4, v88
	v_add_co_u32_e32 v89, vcc, v3, v0
	v_addc_co_u32_e32 v99, vcc, v4, v1, vcc
	v_add_co_u32_e32 v115, vcc, v89, v113
	v_or_b32_e32 v114, 0x180, v88
	v_addc_co_u32_e32 v116, vcc, 0, v99, vcc
	v_lshlrev_b32_e32 v8, 4, v114
	v_add_co_u32_e32 v24, vcc, v89, v8
	v_or_b32_e32 v100, 0x300, v88
	v_addc_co_u32_e32 v25, vcc, 0, v99, vcc
	v_lshlrev_b32_e32 v8, 4, v100
	v_add_co_u32_e32 v40, vcc, v89, v8
	v_addc_co_u32_e32 v41, vcc, 0, v99, vcc
	s_movk_i32 s6, 0x1000
	v_add_co_u32_e32 v26, vcc, s6, v115
	v_addc_co_u32_e32 v27, vcc, 0, v116, vcc
	s_movk_i32 s6, 0x2000
	v_add_co_u32_e32 v42, vcc, s6, v115
	s_movk_i32 s7, 0x3000
	v_addc_co_u32_e32 v43, vcc, 0, v116, vcc
	v_add_co_u32_e32 v48, vcc, s7, v115
	v_addc_co_u32_e32 v49, vcc, 0, v116, vcc
	s_movk_i32 s6, 0x4000
	v_add_co_u32_e32 v56, vcc, s6, v115
	v_or_b32_e32 v98, 0x480, v88
	global_load_dwordx4 v[0:3], v[115:116], off
	global_load_dwordx4 v[4:7], v[115:116], off offset:1536
	global_load_dwordx4 v[8:11], v[115:116], off offset:3072
	;; [unrolled: 1-line block ×3, first 2 shown]
	global_load_dwordx4 v[16:19], v[24:25], off
	global_load_dwordx4 v[20:23], v[26:27], off offset:3584
	s_nop 0
	global_load_dwordx4 v[24:27], v[40:41], off
	global_load_dwordx4 v[28:31], v[48:49], off offset:1536
	global_load_dwordx4 v[32:35], v[42:43], off offset:1024
	global_load_dwordx4 v[36:39], v[42:43], off offset:2560
	v_addc_co_u32_e32 v57, vcc, 0, v116, vcc
	global_load_dwordx4 v[40:43], v[48:49], off offset:3072
	global_load_dwordx4 v[44:47], v[56:57], off offset:512
	v_lshlrev_b32_e32 v48, 4, v98
	v_add_co_u32_e32 v58, vcc, v89, v48
	v_addc_co_u32_e32 v59, vcc, 0, v99, vcc
	s_movk_i32 s6, 0x5000
	v_add_co_u32_e32 v64, vcc, s6, v115
	v_addc_co_u32_e32 v65, vcc, 0, v116, vcc
	global_load_dwordx4 v[48:51], v[58:59], off
	global_load_dwordx4 v[52:55], v[56:57], off offset:3584
	s_nop 0
	global_load_dwordx4 v[56:59], v[64:65], off offset:1024
	global_load_dwordx4 v[60:63], v[64:65], off offset:2560
	v_or_b32_e32 v64, 0x6000, v113
	v_add_co_u32_e32 v72, vcc, v89, v64
	v_addc_co_u32_e32 v73, vcc, 0, v99, vcc
	s_movk_i32 s6, 0x6000
	v_add_co_u32_e32 v80, vcc, s6, v115
	v_addc_co_u32_e32 v81, vcc, 0, v116, vcc
	s_movk_i32 s6, 0x7000
	v_add_co_u32_e32 v94, vcc, s6, v115
	global_load_dwordx4 v[64:67], v[72:73], off
	global_load_dwordx4 v[68:71], v[80:81], off offset:1536
	v_addc_co_u32_e32 v95, vcc, 0, v116, vcc
	global_load_dwordx4 v[72:75], v[80:81], off offset:3072
	global_load_dwordx4 v[76:79], v[94:95], off offset:512
	v_or_b32_e32 v80, 0x7800, v113
	v_add_co_u32_e32 v96, vcc, v89, v80
	v_addc_co_u32_e32 v97, vcc, 0, v99, vcc
	s_mov_b32 s6, 0x8000
	v_add_co_u32_e32 v105, vcc, s6, v115
	v_addc_co_u32_e32 v106, vcc, 0, v116, vcc
	global_load_dwordx4 v[80:83], v[96:97], off
	global_load_dwordx4 v[84:87], v[94:95], off offset:3584
	s_nop 0
	global_load_dwordx4 v[94:97], v[105:106], off offset:1024
	global_load_dwordx4 v[101:104], v[105:106], off offset:2560
	v_or_b32_e32 v105, 0x9000, v113
	v_add_co_u32_e32 v105, vcc, v89, v105
	s_mov_b32 s6, 0x9000
	v_addc_co_u32_e32 v106, vcc, 0, v99, vcc
	v_add_co_u32_e32 v117, vcc, s6, v115
	v_addc_co_u32_e32 v118, vcc, 0, v116, vcc
	s_mov_b32 s6, 0xa000
	v_add_co_u32_e32 v115, vcc, s6, v115
	global_load_dwordx4 v[105:108], v[105:106], off
	s_nop 0
	global_load_dwordx4 v[109:112], v[117:118], off offset:1536
	global_load_dwordx4 v[122:125], v[117:118], off offset:3072
	v_addc_co_u32_e32 v116, vcc, 0, v116, vcc
	v_or_b32_e32 v117, 0xa800, v113
	v_add_co_u32_e32 v117, vcc, v89, v117
	v_addc_co_u32_e32 v118, vcc, 0, v99, vcc
	global_load_dwordx4 v[126:129], v[115:116], off offset:512
	global_load_dwordx4 v[130:133], v[117:118], off
	global_load_dwordx4 v[134:137], v[115:116], off offset:3584
	v_add_u32_e32 v138, 0, v113
	v_mov_b32_e32 v89, 0
	s_waitcnt vmcnt(29)
	ds_write_b128 v138, v[0:3]
	s_waitcnt vmcnt(28)
	ds_write_b128 v138, v[4:7] offset:1536
	s_waitcnt vmcnt(27)
	ds_write_b128 v138, v[8:11] offset:3072
	;; [unrolled: 2-line block ×4, first 2 shown]
	ds_write_b128 v138, v[12:15] offset:4608
	ds_write_b128 v138, v[20:23] offset:7680
	s_waitcnt vmcnt(21)
	ds_write_b128 v138, v[32:35] offset:9216
	s_waitcnt vmcnt(20)
	ds_write_b128 v138, v[36:39] offset:10752
	ds_write_b128 v138, v[28:31] offset:13824
	s_waitcnt vmcnt(19)
	ds_write_b128 v138, v[40:43] offset:15360
	s_waitcnt vmcnt(18)
	;; [unrolled: 2-line block ×14, first 2 shown]
	ds_write_b128 v138, v[101:104] offset:35328
	v_add_u32_e32 v96, 0x60, v88
	v_mov_b32_e32 v97, v89
	v_add_u32_e32 v94, 0xc0, v88
	v_mov_b32_e32 v95, v89
	v_add_u32_e32 v120, 0x120, v88
	v_mov_b32_e32 v121, v89
	v_mov_b32_e32 v115, v89
	v_add_u32_e32 v118, 0x1e0, v88
	v_mov_b32_e32 v119, v89
	v_add_u32_e32 v116, 0x240, v88
	v_mov_b32_e32 v117, v89
	v_mov_b32_e32 v113, v89
	v_mov_b32_e32 v101, v89
	s_waitcnt vmcnt(5)
	ds_write_b128 v138, v[105:108] offset:36864
	s_waitcnt vmcnt(4)
	ds_write_b128 v138, v[109:112] offset:38400
	v_add_u32_e32 v112, 0x2a0, v88
	v_add_u32_e32 v110, 0x360, v88
	v_mov_b32_e32 v111, v89
	v_add_u32_e32 v108, 0x3c0, v88
	v_mov_b32_e32 v109, v89
	v_add_u32_e32 v106, 0x420, v88
	v_mov_b32_e32 v107, v89
	v_mov_b32_e32 v99, v89
	v_add_u32_e32 v102, 0x4e0, v88
	v_mov_b32_e32 v103, v89
	v_add_u32_e32 v104, 0x540, v88
	v_mov_b32_e32 v105, v89
	s_waitcnt vmcnt(3)
	ds_write_b128 v138, v[122:125] offset:39936
	s_waitcnt vmcnt(2)
	ds_write_b128 v138, v[126:129] offset:41472
	;; [unrolled: 2-line block ×4, first 2 shown]
.LBB0_13:
	s_or_b64 exec, exec, s[4:5]
	v_lshlrev_b32_e32 v123, 4, v88
	v_add_u32_e32 v122, 0, v123
	s_load_dwordx2 s[2:3], s[2:3], 0x0
	s_waitcnt lgkmcnt(0)
	s_barrier
	ds_read_b128 v[0:3], v122 offset:9216
	ds_read_b128 v[24:27], v122
	ds_read_b128 v[4:7], v122 offset:1536
	ds_read_b128 v[44:47], v122 offset:10752
	;; [unrolled: 1-line block ×6, first 2 shown]
	s_waitcnt lgkmcnt(6)
	v_add_f64 v[8:9], v[24:25], v[0:1]
	v_add_f64 v[18:19], v[26:27], v[2:3]
	ds_read_b128 v[28:31], v122 offset:13824
	ds_read_b128 v[32:35], v122 offset:4608
	s_waitcnt lgkmcnt(4)
	v_add_f64 v[64:65], v[14:15], v[10:11]
	v_add_f64 v[68:69], v[0:1], -v[14:15]
	v_add_f64 v[70:71], v[14:15], -v[0:1]
	;; [unrolled: 1-line block ×3, first 2 shown]
	v_add_f64 v[8:9], v[8:9], v[14:15]
	v_add_f64 v[22:23], v[18:19], v[16:17]
	ds_read_b128 v[18:21], v122 offset:36864
	ds_read_b128 v[56:59], v122 offset:38400
	s_waitcnt lgkmcnt(2)
	v_add_f64 v[60:61], v[34:35], v[30:31]
	v_add_f64 v[76:77], v[2:3], -v[16:17]
	v_add_f64 v[80:81], v[16:17], -v[2:3]
	s_waitcnt lgkmcnt(1)
	v_add_f64 v[82:83], v[2:3], -v[20:21]
	v_add_f64 v[78:79], v[0:1], v[18:19]
	v_add_f64 v[132:133], v[0:1], -v[18:19]
	v_add_f64 v[84:85], v[2:3], v[20:21]
	v_add_f64 v[14:15], v[8:9], v[10:11]
	v_add_f64 v[86:87], v[18:19], -v[10:11]
	v_add_f64 v[134:135], v[10:11], -v[18:19]
	ds_read_b128 v[0:3], v122 offset:3072
	ds_read_b128 v[8:11], v122 offset:12288
	;; [unrolled: 1-line block ×4, first 2 shown]
	v_add_f64 v[66:67], v[16:17], -v[12:13]
	v_add_f64 v[72:73], v[16:17], v[12:13]
	v_add_f64 v[16:17], v[22:23], v[12:13]
	;; [unrolled: 1-line block ×3, first 2 shown]
	s_waitcnt lgkmcnt(1)
	v_add_f64 v[138:139], v[60:61], v[38:39]
	s_waitcnt lgkmcnt(0)
	v_add_f64 v[140:141], v[36:37], v[40:41]
	v_add_f64 v[148:149], v[38:39], v[42:43]
	ds_read_b128 v[60:63], v122 offset:41472
	v_add_f64 v[124:125], v[20:21], -v[12:13]
	v_add_f64 v[136:137], v[12:13], -v[20:21]
	v_add_f64 v[130:131], v[16:17], v[20:21]
	v_add_f64 v[126:127], v[22:23], v[36:37]
	ds_read_b128 v[20:23], v122 offset:39936
	v_add_f64 v[138:139], v[138:139], v[42:43]
	v_add_f64 v[142:143], v[38:39], -v[42:43]
	v_add_f64 v[144:145], v[28:29], -v[36:37]
	;; [unrolled: 1-line block ×5, first 2 shown]
	s_waitcnt lgkmcnt(1)
	v_add_f64 v[152:153], v[30:31], -v[62:63]
	v_add_f64 v[154:155], v[28:29], v[60:61]
	v_add_f64 v[126:127], v[126:127], v[40:41]
	v_add_f64 v[28:29], v[28:29], -v[60:61]
	v_add_f64 v[30:31], v[30:31], v[62:63]
	v_add_f64 v[158:159], v[62:63], -v[42:43]
	v_add_f64 v[42:43], v[42:43], -v[62:63]
	v_fma_f64 v[140:141], v[140:141], -0.5, v[32:33]
	v_add_f64 v[62:63], v[138:139], v[62:63]
	v_fma_f64 v[138:139], v[148:149], -0.5, v[34:35]
	s_mov_b32 s4, 0x134454ff
	s_mov_b32 s5, 0x3fee6f0e
	;; [unrolled: 1-line block ×4, first 2 shown]
	v_add_f64 v[36:37], v[36:37], -v[40:41]
	v_add_f64 v[156:157], v[60:61], -v[40:41]
	;; [unrolled: 1-line block ×3, first 2 shown]
	v_add_f64 v[60:61], v[126:127], v[60:61]
	v_add_f64 v[148:149], v[150:151], v[158:159]
	v_fma_f64 v[126:127], v[152:153], s[4:5], v[140:141]
	v_fma_f64 v[150:151], v[28:29], s[6:7], v[138:139]
	s_mov_b32 s8, 0x4755a5e
	s_mov_b32 s9, 0x3fe2cf23
	;; [unrolled: 1-line block ×4, first 2 shown]
	v_add_f64 v[144:145], v[144:145], v[156:157]
	v_fma_f64 v[64:65], v[64:65], -0.5, v[24:25]
	v_fma_f64 v[24:25], v[78:79], -0.5, v[24:25]
	v_fma_f64 v[78:79], v[142:143], s[8:9], v[126:127]
	v_fma_f64 v[126:127], v[36:37], s[14:15], v[150:151]
	v_fma_f64 v[72:73], v[72:73], -0.5, v[26:27]
	v_fma_f64 v[30:31], v[30:31], -0.5, v[34:35]
	s_mov_b32 s16, 0x372fe950
	s_mov_b32 s17, 0x3fd3c6ef
	v_fma_f64 v[32:33], v[154:155], -0.5, v[32:33]
	v_add_f64 v[34:35], v[68:69], v[86:87]
	v_fma_f64 v[78:79], v[144:145], s[16:17], v[78:79]
	v_fma_f64 v[68:69], v[148:149], s[16:17], v[126:127]
	;; [unrolled: 1-line block ×4, first 2 shown]
	v_add_f64 v[154:155], v[76:77], v[124:125]
	v_fma_f64 v[76:77], v[36:37], s[4:5], v[30:31]
	s_mov_b32 s18, 0x9b97f4a8
	s_mov_b32 s19, 0x3fe9e377
	v_mul_f64 v[150:151], v[78:79], s[18:19]
	v_mul_f64 v[78:79], v[78:79], s[14:15]
	v_fma_f64 v[124:125], v[74:75], s[14:15], v[126:127]
	v_fma_f64 v[126:127], v[142:143], s[6:7], v[32:33]
	;; [unrolled: 1-line block ×3, first 2 shown]
	v_add_f64 v[38:39], v[38:39], v[42:43]
	v_fma_f64 v[42:43], v[28:29], s[14:15], v[76:77]
	v_fma_f64 v[26:27], v[84:85], -0.5, v[26:27]
	v_fma_f64 v[84:85], v[68:69], s[8:9], v[150:151]
	v_fma_f64 v[68:69], v[68:69], s[18:19], v[78:79]
	v_add_f64 v[40:41], v[146:147], v[40:41]
	v_fma_f64 v[146:147], v[152:153], s[8:9], v[126:127]
	v_add_f64 v[126:127], v[130:131], v[62:63]
	v_add_f64 v[78:79], v[130:131], -v[62:63]
	v_fma_f64 v[62:63], v[66:67], s[6:7], v[24:25]
	v_add_f64 v[128:129], v[14:15], v[18:19]
	v_fma_f64 v[86:87], v[34:35], s[16:17], v[86:87]
	v_fma_f64 v[150:151], v[154:155], s[16:17], v[124:125]
	;; [unrolled: 1-line block ×5, first 2 shown]
	v_add_f64 v[70:71], v[70:71], v[134:135]
	v_add_f64 v[80:81], v[80:81], v[136:137]
	v_fma_f64 v[62:63], v[82:83], s[8:9], v[62:63]
	v_fma_f64 v[136:137], v[152:153], s[6:7], v[140:141]
	;; [unrolled: 1-line block ×3, first 2 shown]
	v_add_f64 v[124:125], v[128:129], v[60:61]
	v_add_f64 v[76:77], v[128:129], -v[60:61]
	v_add_f64 v[128:129], v[86:87], v[84:85]
	v_fma_f64 v[60:61], v[40:41], s[16:17], v[146:147]
	v_add_f64 v[130:131], v[150:151], v[68:69]
	v_add_f64 v[84:85], v[86:87], -v[84:85]
	v_add_f64 v[86:87], v[150:151], -v[68:69]
	v_mul_f64 v[68:69], v[42:43], s[4:5]
	v_fma_f64 v[24:25], v[66:67], s[4:5], v[24:25]
	v_fma_f64 v[32:33], v[152:153], s[14:15], v[32:33]
	;; [unrolled: 1-line block ×6, first 2 shown]
	v_mul_f64 v[134:135], v[60:61], s[6:7]
	v_fma_f64 v[60:61], v[60:61], s[16:17], v[68:69]
	v_fma_f64 v[68:69], v[74:75], s[4:5], v[26:27]
	;; [unrolled: 1-line block ×13, first 2 shown]
	v_mul_f64 v[68:69], v[32:33], s[16:17]
	v_mul_f64 v[70:71], v[28:29], s[16:17]
	v_fma_f64 v[38:39], v[66:67], s[14:15], v[38:39]
	v_fma_f64 v[40:41], v[74:75], s[8:9], v[40:41]
	v_mul_f64 v[66:67], v[62:63], s[18:19]
	v_mul_f64 v[72:73], v[36:37], s[18:19]
	v_fma_f64 v[42:43], v[42:43], s[16:17], v[134:135]
	v_fma_f64 v[64:65], v[80:81], s[16:17], v[64:65]
	;; [unrolled: 1-line block ×3, first 2 shown]
	v_fma_f64 v[28:29], v[28:29], s[4:5], -v[68:69]
	v_fma_f64 v[32:33], v[32:33], s[6:7], -v[70:71]
	v_fma_f64 v[34:35], v[34:35], s[16:17], v[38:39]
	v_fma_f64 v[38:39], v[154:155], s[16:17], v[40:41]
	v_fma_f64 v[36:37], v[36:37], s[8:9], -v[66:67]
	v_fma_f64 v[40:41], v[62:63], s[14:15], -v[72:73]
	v_add_f64 v[132:133], v[30:31], v[60:61]
	v_add_f64 v[134:135], v[64:65], v[42:43]
	;; [unrolled: 1-line block ×4, first 2 shown]
	v_mul_u32_u24_e32 v156, 10, v88
	v_lshl_add_u32 v156, v156, 4, 0
	ds_read_b128 v[16:19], v122 offset:21504
	ds_read_b128 v[12:15], v122 offset:30720
	v_add_f64 v[136:137], v[30:31], -v[60:61]
	v_add_f64 v[138:139], v[64:65], -v[42:43]
	v_add_f64 v[144:145], v[24:25], -v[28:29]
	v_add_f64 v[146:147], v[26:27], -v[32:33]
	v_add_f64 v[148:149], v[34:35], v[36:37]
	v_add_f64 v[150:151], v[38:39], v[40:41]
	v_add_f64 v[152:153], v[34:35], -v[36:37]
	v_add_f64 v[154:155], v[38:39], -v[40:41]
	ds_read_b128 v[60:63], v122 offset:6144
	ds_read_b128 v[24:27], v122 offset:7680
	;; [unrolled: 1-line block ×10, first 2 shown]
	s_waitcnt lgkmcnt(0)
	s_barrier
	ds_write_b128 v156, v[124:127]
	ds_write_b128 v156, v[128:131] offset:16
	ds_write_b128 v156, v[132:135] offset:32
	;; [unrolled: 1-line block ×3, first 2 shown]
	v_add_f64 v[124:125], v[4:5], v[44:45]
	v_add_f64 v[126:127], v[6:7], v[46:47]
	ds_write_b128 v156, v[148:151] offset:64
	ds_write_b128 v156, v[76:79] offset:80
	;; [unrolled: 1-line block ×6, first 2 shown]
	v_add_f64 v[84:85], v[52:53], v[48:49]
	v_add_f64 v[86:87], v[54:55], -v[50:51]
	v_add_f64 v[128:129], v[54:55], v[50:51]
	v_add_f64 v[130:131], v[52:53], -v[48:49]
	v_add_f64 v[132:133], v[54:55], -v[46:47]
	v_add_f64 v[76:77], v[124:125], v[52:53]
	v_add_f64 v[78:79], v[126:127], v[54:55]
	v_add_f64 v[124:125], v[44:45], -v[52:53]
	v_add_f64 v[126:127], v[52:53], -v[44:45]
	;; [unrolled: 1-line block ×4, first 2 shown]
	v_add_f64 v[54:55], v[44:45], v[56:57]
	v_add_f64 v[136:137], v[44:45], -v[56:57]
	v_add_f64 v[44:45], v[46:47], v[58:59]
	v_add_f64 v[46:47], v[76:77], v[48:49]
	;; [unrolled: 1-line block ×3, first 2 shown]
	v_add_f64 v[78:79], v[56:57], -v[48:49]
	v_add_f64 v[142:143], v[48:49], -v[56:57]
	v_add_f64 v[138:139], v[60:61], v[72:73]
	v_add_f64 v[140:141], v[62:63], v[74:75]
	;; [unrolled: 1-line block ×3, first 2 shown]
	v_add_f64 v[150:151], v[74:75], -v[66:67]
	v_add_f64 v[46:47], v[46:47], v[56:57]
	v_add_f64 v[56:57], v[80:81], v[68:69]
	v_add_f64 v[48:49], v[58:59], -v[50:51]
	v_add_f64 v[144:145], v[50:51], -v[58:59]
	v_add_f64 v[50:51], v[76:77], v[58:59]
	v_add_f64 v[58:59], v[138:139], v[80:81]
	;; [unrolled: 1-line block ×3, first 2 shown]
	v_add_f64 v[138:139], v[82:83], -v[70:71]
	v_add_f64 v[140:141], v[72:73], -v[80:81]
	v_fma_f64 v[56:57], v[56:57], -0.5, v[60:61]
	v_add_f64 v[146:147], v[80:81], -v[72:73]
	v_add_f64 v[154:155], v[72:73], v[64:65]
	v_add_f64 v[72:73], v[72:73], -v[64:65]
	v_add_f64 v[156:157], v[64:65], -v[68:69]
	v_fma_f64 v[148:149], v[148:149], -0.5, v[62:63]
	v_add_f64 v[80:81], v[80:81], -v[68:69]
	v_add_f64 v[152:153], v[74:75], -v[82:83]
	v_fma_f64 v[158:159], v[150:151], s[4:5], v[56:57]
	v_add_f64 v[82:83], v[82:83], -v[74:75]
	v_add_f64 v[74:75], v[74:75], v[66:67]
	v_add_f64 v[58:59], v[58:59], v[68:69]
	;; [unrolled: 1-line block ×3, first 2 shown]
	v_add_f64 v[160:161], v[66:67], -v[70:71]
	v_add_f64 v[140:141], v[140:141], v[156:157]
	v_fma_f64 v[156:157], v[72:73], s[6:7], v[148:149]
	v_fma_f64 v[158:159], v[138:139], s[8:9], v[158:159]
	v_fma_f64 v[84:85], v[84:85], -0.5, v[4:5]
	v_fma_f64 v[128:129], v[128:129], -0.5, v[6:7]
	v_add_f64 v[68:69], v[68:69], -v[64:65]
	v_add_f64 v[70:71], v[70:71], -v[66:67]
	v_add_f64 v[58:59], v[58:59], v[64:65]
	v_add_f64 v[64:65], v[76:77], v[66:67]
	;; [unrolled: 1-line block ×3, first 2 shown]
	v_fma_f64 v[76:77], v[80:81], s[14:15], v[156:157]
	v_fma_f64 v[152:153], v[140:141], s[16:17], v[158:159]
	v_fma_f64 v[60:61], v[154:155], -0.5, v[60:61]
	v_fma_f64 v[154:155], v[134:135], s[4:5], v[84:85]
	v_fma_f64 v[156:157], v[136:137], s[6:7], v[128:129]
	v_fma_f64 v[62:63], v[74:75], -0.5, v[62:63]
	v_add_f64 v[74:75], v[124:125], v[78:79]
	v_add_f64 v[78:79], v[52:53], v[48:49]
	v_fma_f64 v[48:49], v[66:67], s[16:17], v[76:77]
	v_mul_f64 v[52:53], v[152:153], s[18:19]
	v_mul_f64 v[76:77], v[152:153], s[14:15]
	v_fma_f64 v[124:125], v[86:87], s[8:9], v[154:155]
	v_fma_f64 v[152:153], v[130:131], s[14:15], v[156:157]
	v_fma_f64 v[154:155], v[54:55], -0.5, v[4:5]
	v_fma_f64 v[156:157], v[44:45], -0.5, v[6:7]
	v_fma_f64 v[4:5], v[80:81], s[4:5], v[62:63]
	v_fma_f64 v[6:7], v[138:139], s[6:7], v[60:61]
	v_add_f64 v[68:69], v[146:147], v[68:69]
	v_add_f64 v[70:71], v[82:83], v[70:71]
	v_fma_f64 v[52:53], v[48:49], s[8:9], v[52:53]
	v_fma_f64 v[54:55], v[48:49], s[18:19], v[76:77]
	;; [unrolled: 1-line block ×6, first 2 shown]
	v_add_f64 v[4:5], v[46:47], v[58:59]
	v_add_f64 v[6:7], v[50:51], v[64:65]
	v_add_f64 v[44:45], v[46:47], -v[58:59]
	v_add_f64 v[46:47], v[50:51], -v[64:65]
	v_add_f64 v[48:49], v[76:77], v[52:53]
	v_add_f64 v[50:51], v[124:125], v[54:55]
	v_fma_f64 v[58:59], v[70:71], s[16:17], v[82:83]
	v_fma_f64 v[64:65], v[68:69], s[16:17], v[146:147]
	v_add_f64 v[52:53], v[76:77], -v[52:53]
	v_add_f64 v[54:55], v[124:125], -v[54:55]
	v_fma_f64 v[76:77], v[86:87], s[6:7], v[154:155]
	v_fma_f64 v[82:83], v[86:87], s[4:5], v[154:155]
	v_add_f64 v[124:125], v[126:127], v[142:143]
	v_add_f64 v[126:127], v[132:133], v[144:145]
	v_mul_f64 v[132:133], v[58:59], s[4:5]
	v_mul_f64 v[142:143], v[64:65], s[6:7]
	v_fma_f64 v[60:61], v[138:139], s[4:5], v[60:61]
	v_fma_f64 v[62:63], v[80:81], s[6:7], v[62:63]
	;; [unrolled: 1-line block ×24, first 2 shown]
	v_mul_f64 v[82:83], v[58:59], s[16:17]
	v_mul_f64 v[84:85], v[60:61], s[16:17]
	v_fma_f64 v[68:69], v[86:87], s[14:15], v[68:69]
	v_fma_f64 v[70:71], v[130:131], s[8:9], v[70:71]
	v_mul_f64 v[86:87], v[56:57], s[18:19]
	v_mul_f64 v[124:125], v[66:67], s[18:19]
	v_add_f64 v[128:129], v[0:1], v[8:9]
	v_fma_f64 v[80:81], v[126:127], s[16:17], v[80:81]
	v_fma_f64 v[76:77], v[126:127], s[16:17], v[76:77]
	v_fma_f64 v[84:85], v[58:59], s[6:7], -v[84:85]
	v_fma_f64 v[82:83], v[60:61], s[4:5], -v[82:83]
	v_fma_f64 v[126:127], v[74:75], s[16:17], v[68:69]
	v_fma_f64 v[78:79], v[78:79], s[16:17], v[70:71]
	v_fma_f64 v[86:87], v[66:67], s[8:9], -v[86:87]
	v_fma_f64 v[124:125], v[56:57], s[14:15], -v[124:125]
	v_add_f64 v[130:131], v[2:3], v[10:11]
	v_add_f64 v[56:57], v[62:63], v[64:65]
	;; [unrolled: 1-line block ×3, first 2 shown]
	v_add_f64 v[70:71], v[80:81], -v[84:85]
	v_add_f64 v[80:81], v[128:129], v[16:17]
	v_add_f64 v[58:59], v[76:77], v[132:133]
	v_add_f64 v[60:61], v[62:63], -v[64:65]
	v_add_f64 v[62:63], v[76:77], -v[132:133]
	v_add_f64 v[64:65], v[72:73], v[82:83]
	v_add_f64 v[68:69], v[72:73], -v[82:83]
	v_add_f64 v[72:73], v[126:127], v[86:87]
	v_add_f64 v[74:75], v[78:79], v[124:125]
	v_add_f64 v[76:77], v[126:127], -v[86:87]
	v_add_f64 v[78:79], v[78:79], -v[124:125]
	v_add_f64 v[82:83], v[130:131], v[18:19]
	v_add_f64 v[84:85], v[16:17], v[12:13]
	v_add_f64 v[86:87], v[18:19], -v[14:15]
	v_add_f64 v[124:125], v[8:9], -v[16:17]
	;; [unrolled: 1-line block ×3, first 2 shown]
	v_add_f64 v[128:129], v[18:19], v[14:15]
	v_add_f64 v[130:131], v[16:17], -v[12:13]
	v_add_f64 v[16:17], v[10:11], -v[18:19]
	;; [unrolled: 1-line block ×4, first 2 shown]
	v_add_f64 v[18:19], v[8:9], v[20:21]
	v_add_f64 v[136:137], v[8:9], -v[20:21]
	v_add_f64 v[8:9], v[10:11], v[22:23]
	v_add_f64 v[10:11], v[80:81], v[12:13]
	;; [unrolled: 1-line block ×3, first 2 shown]
	v_add_f64 v[82:83], v[20:21], -v[12:13]
	v_add_f64 v[142:143], v[12:13], -v[20:21]
	v_add_f64 v[138:139], v[24:25], v[36:37]
	v_add_f64 v[140:141], v[26:27], v[38:39]
	;; [unrolled: 1-line block ×3, first 2 shown]
	v_add_f64 v[150:151], v[38:39], -v[30:31]
	v_add_f64 v[10:11], v[10:11], v[20:21]
	v_add_f64 v[20:21], v[40:41], v[32:33]
	v_add_f64 v[12:13], v[22:23], -v[14:15]
	v_add_f64 v[144:145], v[14:15], -v[22:23]
	v_add_f64 v[14:15], v[80:81], v[22:23]
	v_add_f64 v[22:23], v[138:139], v[40:41]
	;; [unrolled: 1-line block ×3, first 2 shown]
	v_add_f64 v[138:139], v[42:43], -v[34:35]
	v_add_f64 v[140:141], v[36:37], -v[40:41]
	v_fma_f64 v[20:21], v[20:21], -0.5, v[24:25]
	v_add_f64 v[146:147], v[40:41], -v[36:37]
	v_add_f64 v[154:155], v[36:37], v[28:29]
	v_add_f64 v[36:37], v[36:37], -v[28:29]
	v_add_f64 v[156:157], v[28:29], -v[32:33]
	v_fma_f64 v[148:149], v[148:149], -0.5, v[26:27]
	v_add_f64 v[40:41], v[40:41], -v[32:33]
	v_add_f64 v[152:153], v[38:39], -v[42:43]
	v_fma_f64 v[158:159], v[150:151], s[4:5], v[20:21]
	v_add_f64 v[42:43], v[42:43], -v[38:39]
	v_add_f64 v[38:39], v[38:39], v[30:31]
	v_add_f64 v[22:23], v[22:23], v[32:33]
	;; [unrolled: 1-line block ×3, first 2 shown]
	v_add_f64 v[160:161], v[30:31], -v[34:35]
	v_add_f64 v[140:141], v[140:141], v[156:157]
	v_fma_f64 v[156:157], v[36:37], s[6:7], v[148:149]
	v_fma_f64 v[158:159], v[138:139], s[8:9], v[158:159]
	v_fma_f64 v[84:85], v[84:85], -0.5, v[0:1]
	v_fma_f64 v[128:129], v[128:129], -0.5, v[2:3]
	v_add_f64 v[32:33], v[32:33], -v[28:29]
	v_add_f64 v[34:35], v[34:35], -v[30:31]
	v_add_f64 v[22:23], v[22:23], v[28:29]
	v_add_f64 v[28:29], v[80:81], v[30:31]
	;; [unrolled: 1-line block ×3, first 2 shown]
	v_fma_f64 v[80:81], v[40:41], s[14:15], v[156:157]
	v_fma_f64 v[152:153], v[140:141], s[16:17], v[158:159]
	v_fma_f64 v[24:25], v[154:155], -0.5, v[24:25]
	v_fma_f64 v[154:155], v[134:135], s[4:5], v[84:85]
	v_fma_f64 v[156:157], v[136:137], s[6:7], v[128:129]
	v_fma_f64 v[26:27], v[38:39], -0.5, v[26:27]
	v_add_f64 v[38:39], v[124:125], v[82:83]
	v_add_f64 v[82:83], v[16:17], v[12:13]
	v_fma_f64 v[12:13], v[30:31], s[16:17], v[80:81]
	v_mul_f64 v[16:17], v[152:153], s[18:19]
	v_mul_f64 v[80:81], v[152:153], s[14:15]
	v_fma_f64 v[124:125], v[86:87], s[8:9], v[154:155]
	v_fma_f64 v[152:153], v[130:131], s[14:15], v[156:157]
	v_fma_f64 v[154:155], v[18:19], -0.5, v[0:1]
	v_fma_f64 v[156:157], v[8:9], -0.5, v[2:3]
	v_fma_f64 v[0:1], v[40:41], s[4:5], v[26:27]
	v_fma_f64 v[2:3], v[138:139], s[6:7], v[24:25]
	v_add_f64 v[32:33], v[146:147], v[32:33]
	v_add_f64 v[34:35], v[42:43], v[34:35]
	v_fma_f64 v[16:17], v[12:13], s[8:9], v[16:17]
	v_fma_f64 v[18:19], v[12:13], s[18:19], v[80:81]
	;; [unrolled: 1-line block ×6, first 2 shown]
	v_add_f64 v[0:1], v[10:11], v[22:23]
	v_add_f64 v[2:3], v[14:15], v[28:29]
	v_add_f64 v[8:9], v[10:11], -v[22:23]
	v_add_f64 v[10:11], v[14:15], -v[28:29]
	v_add_f64 v[12:13], v[80:81], v[16:17]
	v_add_f64 v[14:15], v[124:125], v[18:19]
	v_fma_f64 v[22:23], v[34:35], s[16:17], v[42:43]
	v_fma_f64 v[28:29], v[32:33], s[16:17], v[146:147]
	;; [unrolled: 1-line block ×3, first 2 shown]
	v_add_f64 v[16:17], v[80:81], -v[16:17]
	v_add_f64 v[18:19], v[124:125], -v[18:19]
	v_fma_f64 v[80:81], v[86:87], s[4:5], v[154:155]
	v_add_f64 v[124:125], v[126:127], v[142:143]
	v_add_f64 v[126:127], v[132:133], v[144:145]
	v_mul_f64 v[132:133], v[22:23], s[4:5]
	v_mul_f64 v[142:143], v[28:29], s[6:7]
	v_fma_f64 v[24:25], v[138:139], s[4:5], v[24:25]
	v_fma_f64 v[26:27], v[40:41], s[6:7], v[26:27]
	;; [unrolled: 1-line block ×24, first 2 shown]
	v_mul_f64 v[80:81], v[22:23], s[16:17]
	v_mul_f64 v[84:85], v[24:25], s[16:17]
	v_fma_f64 v[32:33], v[86:87], s[14:15], v[32:33]
	v_fma_f64 v[34:35], v[130:131], s[8:9], v[34:35]
	v_mul_f64 v[86:87], v[20:21], s[18:19]
	v_mul_f64 v[124:125], v[30:31], s[18:19]
	v_fma_f64 v[40:41], v[126:127], s[16:17], v[40:41]
	v_fma_f64 v[42:43], v[126:127], s[16:17], v[42:43]
	v_fma_f64 v[80:81], v[24:25], s[4:5], -v[80:81]
	v_fma_f64 v[84:85], v[22:23], s[6:7], -v[84:85]
	v_fma_f64 v[126:127], v[38:39], s[16:17], v[32:33]
	v_fma_f64 v[82:83], v[82:83], s[16:17], v[34:35]
	v_fma_f64 v[86:87], v[30:31], s[8:9], -v[86:87]
	v_fma_f64 v[124:125], v[20:21], s[14:15], -v[124:125]
	v_add_f64 v[20:21], v[26:27], v[28:29]
	v_add_f64 v[22:23], v[40:41], v[132:133]
	v_add_f64 v[24:25], v[26:27], -v[28:29]
	v_add_f64 v[28:29], v[36:37], v[80:81]
	v_add_f64 v[30:31], v[42:43], v[84:85]
	v_add_f64 v[32:33], v[36:37], -v[80:81]
	v_add_f64 v[36:37], v[126:127], v[86:87]
	v_add_f64 v[38:39], v[82:83], v[124:125]
	v_mul_i32_i24_e32 v80, 10, v96
	v_add_f64 v[34:35], v[42:43], -v[84:85]
	v_add_f64 v[42:43], v[82:83], -v[124:125]
	v_lshl_add_u32 v124, v80, 4, 0
	ds_write_b128 v124, v[4:7]
	ds_write_b128 v124, v[48:51] offset:16
	ds_write_b128 v124, v[56:59] offset:32
	;; [unrolled: 1-line block ×9, first 2 shown]
	v_mul_i32_i24_e32 v4, 10, v94
	v_add_f64 v[26:27], v[40:41], -v[132:133]
	v_add_f64 v[40:41], v[126:127], -v[86:87]
	v_lshl_add_u32 v87, v4, 4, 0
	s_movk_i32 s4, 0xcd
	ds_write_b128 v87, v[0:3]
	ds_write_b128 v87, v[12:15] offset:16
	ds_write_b128 v87, v[20:23] offset:32
	;; [unrolled: 1-line block ×9, first 2 shown]
	v_mul_lo_u16_sdwa v0, v88, s4 dst_sel:DWORD dst_unused:UNUSED_PAD src0_sel:BYTE_0 src1_sel:DWORD
	v_lshrrev_b16_e32 v126, 11, v0
	v_mul_lo_u16_e32 v0, 10, v126
	v_sub_u16_e32 v127, v88, v0
	v_mov_b32_e32 v82, 5
	v_mul_u32_u24_sdwa v0, v127, v82 dst_sel:DWORD dst_unused:UNUSED_PAD src0_sel:BYTE_0 src1_sel:DWORD
	v_lshlrev_b32_e32 v20, 4, v0
	s_waitcnt lgkmcnt(0)
	s_barrier
	global_load_dwordx4 v[0:3], v20, s[12:13]
	global_load_dwordx4 v[4:7], v20, s[12:13] offset:16
	global_load_dwordx4 v[8:11], v20, s[12:13] offset:32
	global_load_dwordx4 v[12:15], v20, s[12:13] offset:48
	global_load_dwordx4 v[16:19], v20, s[12:13] offset:64
	v_mul_lo_u16_sdwa v20, v96, s4 dst_sel:DWORD dst_unused:UNUSED_PAD src0_sel:BYTE_0 src1_sel:DWORD
	v_lshrrev_b16_e32 v85, 11, v20
	v_mul_lo_u16_e32 v20, 10, v85
	v_sub_u16_e32 v130, v96, v20
	v_mul_u32_u24_sdwa v20, v130, v82 dst_sel:DWORD dst_unused:UNUSED_PAD src0_sel:BYTE_0 src1_sel:DWORD
	v_lshlrev_b32_e32 v40, 4, v20
	global_load_dwordx4 v[20:23], v40, s[12:13]
	global_load_dwordx4 v[24:27], v40, s[12:13] offset:16
	global_load_dwordx4 v[28:31], v40, s[12:13] offset:32
	;; [unrolled: 1-line block ×4, first 2 shown]
	s_mov_b32 s4, 0xcccd
	v_lshl_add_u32 v125, v118, 4, 0
	v_mul_u32_u24_sdwa v48, v94, s4 dst_sel:DWORD dst_unused:UNUSED_PAD src0_sel:WORD_0 src1_sel:DWORD
	v_lshl_add_u32 v86, v108, 4, 0
	ds_read_b128 v[40:43], v125
	ds_read_b128 v[44:47], v86
	v_lshrrev_b32_e32 v83, 19, v48
	v_mul_lo_u16_e32 v48, 10, v83
	v_sub_u16_e32 v84, v94, v48
	v_mul_u32_u24_e32 v48, 5, v84
	v_lshlrev_b32_e32 v64, 4, v48
	global_load_dwordx4 v[50:53], v64, s[12:13]
	global_load_dwordx4 v[54:57], v64, s[12:13] offset:16
	ds_read_b128 v[58:61], v122 offset:23040
	s_mov_b32 s7, 0xbfebb67a
	v_mov_b32_e32 v131, 4
	s_movk_i32 s8, 0xff70
	v_cmp_gt_u32_e32 vcc, 60, v88
	s_waitcnt vmcnt(11) lgkmcnt(2)
	v_mul_f64 v[48:49], v[42:43], v[2:3]
	v_mul_f64 v[2:3], v[40:41], v[2:3]
	s_waitcnt vmcnt(10) lgkmcnt(1)
	v_mul_f64 v[62:63], v[46:47], v[6:7]
	v_mul_f64 v[6:7], v[44:45], v[6:7]
	v_fma_f64 v[80:81], v[40:41], v[0:1], -v[48:49]
	v_fma_f64 v[128:129], v[42:43], v[0:1], v[2:3]
	ds_read_b128 v[0:3], v122 offset:30720
	ds_read_b128 v[136:139], v122 offset:21504
	global_load_dwordx4 v[140:143], v64, s[12:13] offset:32
	global_load_dwordx4 v[144:147], v64, s[12:13] offset:48
	v_fma_f64 v[196:197], v[44:45], v[4:5], -v[62:63]
	v_fma_f64 v[198:199], v[46:47], v[4:5], v[6:7]
	global_load_dwordx4 v[4:7], v64, s[12:13] offset:64
	v_mul_u32_u24_sdwa v40, v120, s4 dst_sel:DWORD dst_unused:UNUSED_PAD src0_sel:WORD_0 src1_sel:DWORD
	v_lshrrev_b32_e32 v134, 19, v40
	v_mul_lo_u16_e32 v40, 10, v134
	v_sub_u16_e32 v135, v120, v40
	v_mul_u32_u24_e32 v40, 5, v135
	v_lshlrev_b32_e32 v64, 4, v40
	s_waitcnt vmcnt(12) lgkmcnt(2)
	v_mul_f64 v[48:49], v[60:61], v[10:11]
	v_mul_f64 v[10:11], v[58:59], v[10:11]
	global_load_dwordx4 v[148:151], v64, s[12:13]
	global_load_dwordx4 v[152:155], v64, s[12:13] offset:16
	s_waitcnt vmcnt(13) lgkmcnt(1)
	v_mul_f64 v[62:63], v[2:3], v[14:15]
	v_mul_f64 v[14:15], v[0:1], v[14:15]
	ds_read_b128 v[40:43], v122 offset:32256
	ds_read_b128 v[44:47], v122 offset:38400
	;; [unrolled: 1-line block ×3, first 2 shown]
	v_fma_f64 v[200:201], v[58:59], v[8:9], -v[48:49]
	v_fma_f64 v[202:203], v[60:61], v[8:9], v[10:11]
	global_load_dwordx4 v[8:11], v64, s[12:13] offset:32
	v_fma_f64 v[204:205], v[0:1], v[12:13], -v[62:63]
	v_fma_f64 v[206:207], v[2:3], v[12:13], v[14:15]
	ds_read_b128 v[0:3], v122 offset:16896
	global_load_dwordx4 v[12:15], v64, s[12:13] offset:48
	global_load_dwordx4 v[160:163], v64, s[12:13] offset:64
	v_mul_u32_u24_sdwa v58, v114, s4 dst_sel:DWORD dst_unused:UNUSED_PAD src0_sel:WORD_0 src1_sel:DWORD
	v_lshrrev_b32_e32 v132, 19, v58
	v_mul_lo_u16_e32 v58, 10, v132
	v_sub_u16_e32 v133, v114, v58
	v_mul_u32_u24_e32 v62, 5, v133
	v_lshlrev_b32_e32 v66, 4, v62
	global_load_dwordx4 v[164:167], v66, s[12:13]
	global_load_dwordx4 v[172:175], v66, s[12:13] offset:16
	global_load_dwordx4 v[180:183], v66, s[12:13] offset:32
	;; [unrolled: 1-line block ×4, first 2 shown]
	s_waitcnt vmcnt(20) lgkmcnt(2)
	v_mul_f64 v[48:49], v[46:47], v[18:19]
	v_mul_f64 v[18:19], v[44:45], v[18:19]
	ds_read_b128 v[58:61], v122 offset:9216
	ds_read_b128 v[176:179], v122 offset:13824
	s_waitcnt vmcnt(18) lgkmcnt(2)
	v_mul_f64 v[64:65], v[2:3], v[26:27]
	v_mul_f64 v[26:27], v[0:1], v[26:27]
	ds_read_b128 v[168:171], v122
	s_waitcnt lgkmcnt(2)
	v_mul_f64 v[62:63], v[60:61], v[22:23]
	v_mul_f64 v[22:23], v[58:59], v[22:23]
	v_fma_f64 v[208:209], v[44:45], v[16:17], -v[48:49]
	v_fma_f64 v[210:211], v[46:47], v[16:17], v[18:19]
	ds_read_b128 v[16:19], v122 offset:24576
	s_mov_b32 s4, 0xe8584caa
	s_mov_b32 s5, 0x3febb67a
	;; [unrolled: 1-line block ×3, first 2 shown]
	v_fma_f64 v[68:69], v[58:59], v[20:21], -v[62:63]
	v_fma_f64 v[70:71], v[60:61], v[20:21], v[22:23]
	v_fma_f64 v[60:61], v[0:1], v[24:25], -v[64:65]
	v_fma_f64 v[62:63], v[2:3], v[24:25], v[26:27]
	ds_read_b128 v[0:3], v122 offset:26112
	s_waitcnt vmcnt(17) lgkmcnt(1)
	v_mul_f64 v[48:49], v[18:19], v[30:31]
	v_mul_f64 v[30:31], v[16:17], v[30:31]
	s_waitcnt vmcnt(16)
	v_mul_f64 v[58:59], v[42:43], v[34:35]
	v_mul_f64 v[34:35], v[40:41], v[34:35]
	ds_read_b128 v[20:23], v122 offset:39936
	ds_read_b128 v[24:27], v122 offset:41472
	;; [unrolled: 1-line block ×4, first 2 shown]
	v_fma_f64 v[74:75], v[16:17], v[28:29], -v[48:49]
	v_fma_f64 v[78:79], v[18:19], v[28:29], v[30:31]
	ds_read_b128 v[16:19], v122 offset:18432
	s_waitcnt vmcnt(15) lgkmcnt(4)
	v_mul_f64 v[72:73], v[22:23], v[38:39]
	v_mul_f64 v[38:39], v[20:21], v[38:39]
	s_waitcnt vmcnt(14) lgkmcnt(2)
	v_mul_f64 v[48:49], v[46:47], v[52:53]
	v_fma_f64 v[64:65], v[40:41], v[32:33], -v[58:59]
	v_fma_f64 v[66:67], v[42:43], v[32:33], v[34:35]
	v_mul_f64 v[32:33], v[44:45], v[52:53]
	s_waitcnt vmcnt(13) lgkmcnt(0)
	v_mul_f64 v[34:35], v[18:19], v[56:57]
	ds_read_b128 v[28:31], v122 offset:33792
	v_fma_f64 v[72:73], v[20:21], v[36:37], -v[72:73]
	v_fma_f64 v[76:77], v[22:23], v[36:37], v[38:39]
	ds_read_b128 v[36:39], v122 offset:35328
	v_fma_f64 v[48:49], v[44:45], v[50:51], -v[48:49]
	v_mul_f64 v[42:43], v[16:17], v[56:57]
	s_waitcnt vmcnt(12)
	v_mul_f64 v[44:45], v[2:3], v[142:143]
	v_mul_f64 v[52:53], v[0:1], v[142:143]
	v_fma_f64 v[50:51], v[46:47], v[50:51], v[32:33]
	v_fma_f64 v[40:41], v[16:17], v[54:55], -v[34:35]
	s_waitcnt vmcnt(11) lgkmcnt(1)
	v_mul_f64 v[16:17], v[28:29], v[146:147]
	s_waitcnt vmcnt(10)
	v_mul_f64 v[32:33], v[26:27], v[6:7]
	ds_read_b128 v[20:23], v122 offset:19968
	v_mul_f64 v[58:59], v[30:31], v[146:147]
	v_fma_f64 v[42:43], v[18:19], v[54:55], v[42:43]
	v_fma_f64 v[54:55], v[0:1], v[140:141], -v[44:45]
	v_fma_f64 v[56:57], v[2:3], v[140:141], v[52:53]
	ds_read_b128 v[0:3], v122 offset:27648
	v_mul_f64 v[6:7], v[24:25], v[6:7]
	v_fma_f64 v[46:47], v[30:31], v[144:145], v[16:17]
	v_fma_f64 v[52:53], v[24:25], v[4:5], -v[32:33]
	s_waitcnt vmcnt(9)
	v_mul_f64 v[16:17], v[192:193], v[150:151]
	s_waitcnt vmcnt(8) lgkmcnt(1)
	v_mul_f64 v[24:25], v[22:23], v[154:155]
	v_fma_f64 v[44:45], v[28:29], v[144:145], -v[58:59]
	v_mul_f64 v[18:19], v[194:195], v[150:151]
	v_mul_f64 v[32:33], v[20:21], v[154:155]
	v_fma_f64 v[58:59], v[26:27], v[4:5], v[6:7]
	s_waitcnt vmcnt(7) lgkmcnt(0)
	v_mul_f64 v[26:27], v[2:3], v[10:11]
	v_mul_f64 v[10:11], v[0:1], v[10:11]
	v_fma_f64 v[30:31], v[194:195], v[148:149], v[16:17]
	v_fma_f64 v[16:17], v[20:21], v[152:153], -v[24:25]
	s_waitcnt vmcnt(6)
	v_mul_f64 v[20:21], v[38:39], v[14:15]
	v_mul_f64 v[14:15], v[36:37], v[14:15]
	ds_read_b128 v[4:7], v122 offset:43008
	v_fma_f64 v[28:29], v[192:193], v[148:149], -v[18:19]
	v_fma_f64 v[18:19], v[22:23], v[152:153], v[32:33]
	ds_read_b128 v[22:25], v122 offset:44544
	v_fma_f64 v[32:33], v[0:1], v[8:9], -v[26:27]
	v_fma_f64 v[34:35], v[2:3], v[8:9], v[10:11]
	s_waitcnt vmcnt(5) lgkmcnt(1)
	v_mul_f64 v[0:1], v[6:7], v[162:163]
	v_mul_f64 v[2:3], v[4:5], v[162:163]
	v_fma_f64 v[20:21], v[36:37], v[12:13], -v[20:21]
	s_waitcnt vmcnt(4)
	v_mul_f64 v[8:9], v[178:179], v[166:167]
	v_fma_f64 v[26:27], v[38:39], v[12:13], v[14:15]
	v_mul_f64 v[10:11], v[176:177], v[166:167]
	s_waitcnt vmcnt(3)
	v_mul_f64 v[12:13], v[138:139], v[174:175]
	v_mul_f64 v[14:15], v[136:137], v[174:175]
	ds_read_b128 v[140:143], v122 offset:29184
	v_fma_f64 v[36:37], v[4:5], v[160:161], -v[0:1]
	v_fma_f64 v[38:39], v[6:7], v[160:161], v[2:3]
	v_fma_f64 v[4:5], v[176:177], v[164:165], -v[8:9]
	v_add_f64 v[148:149], v[200:201], -v[208:209]
	s_waitcnt vmcnt(2) lgkmcnt(0)
	v_mul_f64 v[6:7], v[142:143], v[182:183]
	v_fma_f64 v[8:9], v[178:179], v[164:165], v[10:11]
	v_fma_f64 v[0:1], v[136:137], v[172:173], -v[12:13]
	v_fma_f64 v[2:3], v[138:139], v[172:173], v[14:15]
	s_waitcnt vmcnt(1)
	v_mul_f64 v[10:11], v[158:159], v[186:187]
	v_mul_f64 v[136:137], v[156:157], v[186:187]
	s_waitcnt vmcnt(0)
	v_mul_f64 v[138:139], v[24:25], v[190:191]
	v_mul_f64 v[144:145], v[140:141], v[182:183]
	v_fma_f64 v[12:13], v[140:141], v[180:181], -v[6:7]
	v_mul_f64 v[140:141], v[22:23], v[190:191]
	v_add_f64 v[150:151], v[202:203], -v[210:211]
	v_add_f64 v[146:147], v[170:171], v[198:199]
	v_fma_f64 v[6:7], v[156:157], v[184:185], -v[10:11]
	v_fma_f64 v[10:11], v[158:159], v[184:185], v[136:137]
	v_add_f64 v[136:137], v[202:203], v[210:211]
	v_fma_f64 v[22:23], v[22:23], v[188:189], -v[138:139]
	v_add_f64 v[138:139], v[200:201], v[208:209]
	v_fma_f64 v[14:15], v[142:143], v[180:181], v[144:145]
	v_add_f64 v[142:143], v[196:197], v[204:205]
	v_add_f64 v[144:145], v[198:199], v[206:207]
	v_fma_f64 v[24:25], v[24:25], v[188:189], v[140:141]
	v_add_f64 v[160:161], v[198:199], -v[206:207]
	v_fma_f64 v[136:137], v[136:137], -0.5, v[128:129]
	v_add_f64 v[128:129], v[128:129], v[202:203]
	v_fma_f64 v[138:139], v[138:139], -0.5, v[80:81]
	v_add_f64 v[80:81], v[80:81], v[200:201]
	v_fma_f64 v[140:141], v[142:143], -0.5, v[168:169]
	v_fma_f64 v[142:143], v[144:145], -0.5, v[170:171]
	v_add_f64 v[144:145], v[168:169], v[196:197]
	v_add_f64 v[162:163], v[196:197], -v[204:205]
	v_fma_f64 v[152:153], v[148:149], s[6:7], v[136:137]
	v_fma_f64 v[148:149], v[148:149], s[4:5], v[136:137]
	;; [unrolled: 1-line block ×4, first 2 shown]
	v_add_f64 v[146:147], v[146:147], v[206:207]
	v_add_f64 v[80:81], v[80:81], v[208:209]
	;; [unrolled: 1-line block ×4, first 2 shown]
	v_mul_f64 v[156:157], v[152:153], s[4:5]
	v_mul_f64 v[166:167], v[148:149], -0.5
	v_mul_f64 v[158:159], v[154:155], s[6:7]
	v_mul_f64 v[164:165], v[150:151], -0.5
	v_add_f64 v[136:137], v[144:145], v[80:81]
	v_add_f64 v[138:139], v[146:147], v[128:129]
	v_fma_f64 v[154:155], v[154:155], 0.5, v[156:157]
	v_fma_f64 v[156:157], v[160:161], s[4:5], v[140:141]
	v_fma_f64 v[152:153], v[152:153], 0.5, v[158:159]
	v_fma_f64 v[158:159], v[162:163], s[6:7], v[142:143]
	v_fma_f64 v[160:161], v[160:161], s[6:7], v[140:141]
	;; [unrolled: 1-line block ×5, first 2 shown]
	v_add_f64 v[140:141], v[144:145], -v[80:81]
	v_add_f64 v[142:143], v[146:147], -v[128:129]
	v_add_f64 v[144:145], v[156:157], v[154:155]
	v_add_f64 v[146:147], v[158:159], v[152:153]
	v_mul_u32_u24_e32 v80, 0x3c0, v126
	v_lshlrev_b32_sdwa v81, v131, v127 dst_sel:DWORD dst_unused:UNUSED_PAD src0_sel:DWORD src1_sel:BYTE_0
	v_add3_u32 v176, 0, v80, v81
	v_mad_i32_i24 v129, v96, s8, v124
	v_add_f64 v[148:149], v[156:157], -v[154:155]
	v_add_f64 v[150:151], v[158:159], -v[152:153]
	v_add_f64 v[152:153], v[160:161], v[164:165]
	v_add_f64 v[154:155], v[162:163], v[166:167]
	v_add_f64 v[156:157], v[160:161], -v[164:165]
	v_add_f64 v[158:159], v[162:163], -v[166:167]
	v_mad_i32_i24 v128, v94, s8, v87
	v_lshl_add_u32 v127, v120, 4, 0
	v_lshl_add_u32 v126, v114, 4, 0
	ds_read_b128 v[160:163], v129
	ds_read_b128 v[164:167], v128
	;; [unrolled: 1-line block ×4, first 2 shown]
	s_waitcnt lgkmcnt(0)
	s_barrier
	ds_write_b128 v176, v[136:139]
	ds_write_b128 v176, v[144:147] offset:160
	v_add_f64 v[80:81], v[78:79], v[76:77]
	v_add_f64 v[136:137], v[74:75], v[72:73]
	ds_write_b128 v176, v[152:155] offset:320
	ds_write_b128 v176, v[140:143] offset:480
	;; [unrolled: 1-line block ×4, first 2 shown]
	v_add_f64 v[138:139], v[60:61], v[64:65]
	v_add_f64 v[140:141], v[62:63], v[66:67]
	v_add_f64 v[142:143], v[74:75], -v[72:73]
	v_add_f64 v[144:145], v[78:79], -v[76:77]
	v_fma_f64 v[80:81], v[80:81], -0.5, v[70:71]
	v_fma_f64 v[136:137], v[136:137], -0.5, v[68:69]
	v_add_f64 v[68:69], v[68:69], v[74:75]
	v_add_f64 v[70:71], v[70:71], v[78:79]
	v_add_f64 v[146:147], v[160:161], v[60:61]
	v_add_f64 v[148:149], v[162:163], v[62:63]
	v_fma_f64 v[74:75], v[138:139], -0.5, v[160:161]
	v_fma_f64 v[78:79], v[140:141], -0.5, v[162:163]
	v_fma_f64 v[138:139], v[142:143], s[6:7], v[80:81]
	v_fma_f64 v[140:141], v[144:145], s[4:5], v[136:137]
	v_add_f64 v[68:69], v[68:69], v[72:73]
	v_add_f64 v[70:71], v[70:71], v[76:77]
	v_fma_f64 v[72:73], v[144:145], s[6:7], v[136:137]
	v_fma_f64 v[76:77], v[142:143], s[4:5], v[80:81]
	v_add_f64 v[146:147], v[146:147], v[64:65]
	v_add_f64 v[148:149], v[148:149], v[66:67]
	v_mul_f64 v[80:81], v[138:139], s[4:5]
	v_mul_f64 v[136:137], v[140:141], s[6:7]
	v_add_f64 v[66:67], v[62:63], -v[66:67]
	v_add_f64 v[64:65], v[60:61], -v[64:65]
	v_mul_f64 v[142:143], v[72:73], -0.5
	v_mul_f64 v[144:145], v[76:77], -0.5
	v_add_f64 v[60:61], v[146:147], v[68:69]
	v_add_f64 v[62:63], v[148:149], v[70:71]
	v_fma_f64 v[80:81], v[140:141], 0.5, v[80:81]
	v_fma_f64 v[136:137], v[138:139], 0.5, v[136:137]
	v_fma_f64 v[138:139], v[66:67], s[4:5], v[74:75]
	v_fma_f64 v[140:141], v[64:65], s[6:7], v[78:79]
	;; [unrolled: 1-line block ×6, first 2 shown]
	v_add_f64 v[64:65], v[146:147], -v[68:69]
	v_add_f64 v[66:67], v[148:149], -v[70:71]
	v_add_f64 v[68:69], v[138:139], v[80:81]
	v_add_f64 v[70:71], v[140:141], v[136:137]
	v_add_f64 v[72:73], v[138:139], -v[80:81]
	v_mul_u32_u24_e32 v80, 0x3c0, v85
	v_lshlrev_b32_sdwa v81, v131, v130 dst_sel:DWORD dst_unused:UNUSED_PAD src0_sel:DWORD src1_sel:BYTE_0
	v_add3_u32 v80, 0, v80, v81
	v_add_f64 v[76:77], v[150:151], v[142:143]
	v_add_f64 v[78:79], v[152:153], v[144:145]
	ds_write_b128 v80, v[60:63]
	ds_write_b128 v80, v[68:71] offset:160
	v_add_f64 v[60:61], v[56:57], v[58:59]
	v_add_f64 v[62:63], v[54:55], v[52:53]
	v_add_f64 v[74:75], v[140:141], -v[136:137]
	v_add_f64 v[136:137], v[150:151], -v[142:143]
	;; [unrolled: 1-line block ×4, first 2 shown]
	ds_write_b128 v80, v[76:79] offset:320
	ds_write_b128 v80, v[64:67] offset:480
	;; [unrolled: 1-line block ×4, first 2 shown]
	v_add_f64 v[64:65], v[40:41], v[44:45]
	v_add_f64 v[66:67], v[42:43], v[46:47]
	v_fma_f64 v[60:61], v[60:61], -0.5, v[50:51]
	v_fma_f64 v[62:63], v[62:63], -0.5, v[48:49]
	v_add_f64 v[70:71], v[56:57], -v[58:59]
	v_add_f64 v[48:49], v[48:49], v[54:55]
	v_add_f64 v[50:51], v[50:51], v[56:57]
	;; [unrolled: 1-line block ×4, first 2 shown]
	v_fma_f64 v[54:55], v[64:65], -0.5, v[164:165]
	v_fma_f64 v[56:57], v[66:67], -0.5, v[166:167]
	v_fma_f64 v[64:65], v[68:69], s[6:7], v[60:61]
	v_fma_f64 v[66:67], v[70:71], s[4:5], v[62:63]
	v_add_f64 v[48:49], v[48:49], v[52:53]
	v_add_f64 v[50:51], v[50:51], v[58:59]
	v_fma_f64 v[52:53], v[70:71], s[6:7], v[62:63]
	v_fma_f64 v[58:59], v[68:69], s[4:5], v[60:61]
	v_add_f64 v[72:73], v[72:73], v[44:45]
	v_add_f64 v[74:75], v[74:75], v[46:47]
	v_mul_f64 v[60:61], v[64:65], s[4:5]
	v_mul_f64 v[62:63], v[66:67], s[6:7]
	v_add_f64 v[46:47], v[42:43], -v[46:47]
	v_add_f64 v[44:45], v[40:41], -v[44:45]
	v_mul_f64 v[68:69], v[52:53], -0.5
	v_mul_f64 v[70:71], v[58:59], -0.5
	v_add_f64 v[40:41], v[72:73], v[48:49]
	v_add_f64 v[42:43], v[74:75], v[50:51]
	v_fma_f64 v[60:61], v[66:67], 0.5, v[60:61]
	v_fma_f64 v[62:63], v[64:65], 0.5, v[62:63]
	v_fma_f64 v[64:65], v[46:47], s[4:5], v[54:55]
	v_fma_f64 v[66:67], v[44:45], s[6:7], v[56:57]
	;; [unrolled: 1-line block ×6, first 2 shown]
	v_add_f64 v[44:45], v[72:73], -v[48:49]
	v_add_f64 v[46:47], v[74:75], -v[50:51]
	v_add_f64 v[48:49], v[64:65], v[60:61]
	v_add_f64 v[50:51], v[66:67], v[62:63]
	v_add_f64 v[52:53], v[64:65], -v[60:61]
	v_mul_u32_u24_e32 v64, 0x3c0, v83
	v_lshlrev_b32_e32 v65, 4, v84
	v_add3_u32 v64, 0, v64, v65
	v_add_f64 v[56:57], v[76:77], v[68:69]
	v_add_f64 v[58:59], v[78:79], v[70:71]
	ds_write_b128 v64, v[40:43]
	ds_write_b128 v64, v[48:51] offset:160
	v_add_f64 v[40:41], v[34:35], v[38:39]
	v_add_f64 v[42:43], v[32:33], v[36:37]
	v_add_f64 v[54:55], v[66:67], -v[62:63]
	v_add_f64 v[60:61], v[76:77], -v[68:69]
	;; [unrolled: 1-line block ×4, first 2 shown]
	ds_write_b128 v64, v[56:59] offset:320
	ds_write_b128 v64, v[44:47] offset:480
	;; [unrolled: 1-line block ×4, first 2 shown]
	v_add_f64 v[44:45], v[16:17], v[20:21]
	v_add_f64 v[46:47], v[18:19], v[26:27]
	v_fma_f64 v[40:41], v[40:41], -0.5, v[30:31]
	v_fma_f64 v[42:43], v[42:43], -0.5, v[28:29]
	v_add_f64 v[50:51], v[34:35], -v[38:39]
	v_add_f64 v[30:31], v[30:31], v[34:35]
	v_add_f64 v[28:29], v[28:29], v[32:33]
	;; [unrolled: 1-line block ×4, first 2 shown]
	v_fma_f64 v[32:33], v[44:45], -0.5, v[168:169]
	v_fma_f64 v[34:35], v[46:47], -0.5, v[170:171]
	v_fma_f64 v[44:45], v[48:49], s[6:7], v[40:41]
	v_fma_f64 v[46:47], v[50:51], s[4:5], v[42:43]
	v_add_f64 v[30:31], v[30:31], v[38:39]
	v_fma_f64 v[38:39], v[48:49], s[4:5], v[40:41]
	v_add_f64 v[28:29], v[28:29], v[36:37]
	;; [unrolled: 2-line block ×3, first 2 shown]
	v_add_f64 v[54:55], v[54:55], v[26:27]
	v_mul_f64 v[40:41], v[44:45], s[4:5]
	v_mul_f64 v[42:43], v[46:47], s[6:7]
	v_add_f64 v[26:27], v[18:19], -v[26:27]
	v_add_f64 v[20:21], v[16:17], -v[20:21]
	v_mul_f64 v[50:51], v[38:39], -0.5
	v_mul_f64 v[48:49], v[36:37], -0.5
	v_add_f64 v[16:17], v[52:53], v[28:29]
	v_add_f64 v[18:19], v[54:55], v[30:31]
	v_fma_f64 v[40:41], v[46:47], 0.5, v[40:41]
	v_fma_f64 v[42:43], v[44:45], 0.5, v[42:43]
	v_fma_f64 v[44:45], v[26:27], s[4:5], v[32:33]
	v_fma_f64 v[46:47], v[20:21], s[6:7], v[34:35]
	;; [unrolled: 1-line block ×6, first 2 shown]
	v_add_f64 v[26:27], v[52:53], -v[28:29]
	v_add_f64 v[28:29], v[54:55], -v[30:31]
	v_add_f64 v[30:31], v[44:45], v[40:41]
	v_add_f64 v[32:33], v[46:47], v[42:43]
	v_add_f64 v[34:35], v[44:45], -v[40:41]
	v_add_f64 v[40:41], v[20:21], v[50:51]
	v_add_f64 v[44:45], v[20:21], -v[50:51]
	v_mul_u32_u24_e32 v20, 0x3c0, v134
	v_lshlrev_b32_e32 v21, 4, v135
	v_add3_u32 v20, 0, v20, v21
	v_add_f64 v[38:39], v[56:57], v[48:49]
	ds_write_b128 v20, v[16:19]
	ds_write_b128 v20, v[30:33] offset:160
	v_add_f64 v[16:17], v[14:15], v[24:25]
	v_add_f64 v[18:19], v[12:13], v[22:23]
	v_add_f64 v[36:37], v[46:47], -v[42:43]
	v_add_f64 v[42:43], v[56:57], -v[48:49]
	;; [unrolled: 1-line block ×3, first 2 shown]
	v_add_f64 v[32:33], v[172:173], v[0:1]
	ds_write_b128 v20, v[38:41] offset:320
	ds_write_b128 v20, v[26:29] offset:480
	;; [unrolled: 1-line block ×4, first 2 shown]
	v_add_f64 v[20:21], v[0:1], v[6:7]
	v_add_f64 v[26:27], v[2:3], v[10:11]
	v_fma_f64 v[16:17], v[16:17], -0.5, v[8:9]
	v_add_f64 v[28:29], v[12:13], -v[22:23]
	v_fma_f64 v[18:19], v[18:19], -0.5, v[4:5]
	v_add_f64 v[34:35], v[174:175], v[2:3]
	v_add_f64 v[4:5], v[4:5], v[12:13]
	;; [unrolled: 1-line block ×3, first 2 shown]
	v_fma_f64 v[12:13], v[20:21], -0.5, v[172:173]
	v_fma_f64 v[14:15], v[26:27], -0.5, v[174:175]
	v_add_f64 v[32:33], v[32:33], v[6:7]
	v_fma_f64 v[20:21], v[28:29], s[6:7], v[16:17]
	v_fma_f64 v[26:27], v[30:31], s[4:5], v[18:19]
	;; [unrolled: 1-line block ×4, first 2 shown]
	v_add_f64 v[34:35], v[34:35], v[10:11]
	v_add_f64 v[4:5], v[4:5], v[22:23]
	;; [unrolled: 1-line block ×3, first 2 shown]
	v_add_f64 v[10:11], v[2:3], -v[10:11]
	v_mul_f64 v[22:23], v[20:21], s[4:5]
	v_mul_f64 v[24:25], v[26:27], s[6:7]
	v_add_f64 v[6:7], v[0:1], -v[6:7]
	v_mul_f64 v[28:29], v[18:19], -0.5
	v_mul_f64 v[30:31], v[16:17], -0.5
	v_add_f64 v[0:1], v[32:33], v[4:5]
	v_add_f64 v[2:3], v[34:35], v[8:9]
	v_fma_f64 v[36:37], v[10:11], s[6:7], v[12:13]
	v_fma_f64 v[22:23], v[26:27], 0.5, v[22:23]
	v_fma_f64 v[20:21], v[20:21], 0.5, v[24:25]
	v_fma_f64 v[24:25], v[10:11], s[4:5], v[12:13]
	v_fma_f64 v[26:27], v[6:7], s[6:7], v[14:15]
	;; [unrolled: 1-line block ×5, first 2 shown]
	v_add_f64 v[6:7], v[34:35], -v[8:9]
	v_add_f64 v[4:5], v[32:33], -v[4:5]
	v_mov_b32_e32 v130, s13
	v_add_f64 v[8:9], v[24:25], v[22:23]
	v_add_f64 v[10:11], v[26:27], v[20:21]
	v_add_f64 v[12:13], v[24:25], -v[22:23]
	v_add_f64 v[16:17], v[36:37], v[28:29]
	v_add_f64 v[18:19], v[38:39], v[30:31]
	v_add_f64 v[14:15], v[26:27], -v[20:21]
	v_add_f64 v[20:21], v[36:37], -v[28:29]
	;; [unrolled: 1-line block ×3, first 2 shown]
	v_mul_u32_u24_e32 v24, 0x3c0, v132
	v_lshlrev_b32_e32 v25, 4, v133
	v_add3_u32 v24, 0, v24, v25
	ds_write_b128 v24, v[0:3]
	ds_write_b128 v24, v[8:11] offset:160
	ds_write_b128 v24, v[16:19] offset:320
	;; [unrolled: 1-line block ×5, first 2 shown]
	v_subrev_u32_e32 v0, 60, v88
	v_cndmask_b32_e32 v135, v0, v88, vcc
	v_mul_i32_i24_e32 v0, 5, v135
	v_mov_b32_e32 v1, 0
	v_lshlrev_b64 v[2:3], 4, v[0:1]
	s_waitcnt lgkmcnt(0)
	v_add_co_u32_e32 v22, vcc, s12, v2
	v_addc_co_u32_e32 v23, vcc, v130, v3, vcc
	s_barrier
	global_load_dwordx4 v[2:5], v[22:23], off offset:800
	global_load_dwordx4 v[6:9], v[22:23], off offset:816
	;; [unrolled: 1-line block ×5, first 2 shown]
	s_movk_i32 s8, 0x89
	v_mul_lo_u16_sdwa v0, v96, s8 dst_sel:DWORD dst_unused:UNUSED_PAD src0_sel:BYTE_0 src1_sel:DWORD
	v_lshrrev_b16_e32 v133, 13, v0
	v_mul_lo_u16_e32 v0, 60, v133
	v_sub_u16_e32 v134, v96, v0
	v_mul_u32_u24_sdwa v0, v134, v82 dst_sel:DWORD dst_unused:UNUSED_PAD src0_sel:BYTE_0 src1_sel:DWORD
	v_lshlrev_b32_e32 v0, 4, v0
	global_load_dwordx4 v[22:25], v0, s[12:13] offset:800
	global_load_dwordx4 v[26:29], v0, s[12:13] offset:816
	ds_read_b128 v[30:33], v125
	ds_read_b128 v[38:41], v86
	global_load_dwordx4 v[34:37], v0, s[12:13] offset:832
	global_load_dwordx4 v[42:45], v0, s[12:13] offset:848
	;; [unrolled: 1-line block ×3, first 2 shown]
	s_mov_b32 s8, 0x8889
	v_mul_u32_u24_sdwa v0, v94, s8 dst_sel:DWORD dst_unused:UNUSED_PAD src0_sel:WORD_0 src1_sel:DWORD
	v_lshrrev_b32_e32 v0, 21, v0
	v_mul_lo_u16_e32 v52, 60, v0
	v_sub_u16_e32 v132, v94, v52
	v_mul_u32_u24_e32 v52, 5, v132
	v_lshlrev_b32_e32 v66, 4, v52
	global_load_dwordx4 v[52:55], v66, s[12:13] offset:800
	ds_read_b128 v[56:59], v122 offset:23040
	ds_read_b128 v[140:143], v122 offset:21504
	;; [unrolled: 1-line block ×3, first 2 shown]
	global_load_dwordx4 v[144:147], v66, s[12:13] offset:848
	ds_read_b128 v[156:159], v122 offset:36864
	v_cmp_lt_u32_e32 vcc, 59, v88
	v_lshlrev_b32_e32 v135, 4, v135
	v_lshlrev_b32_sdwa v131, v131, v134 dst_sel:DWORD dst_unused:UNUSED_PAD src0_sel:DWORD src1_sel:BYTE_0
	v_mul_u32_u24_e32 v133, 0x1680, v133
	v_add3_u32 v131, 0, v133, v131
	v_mul_u32_u24_e32 v0, 0x1680, v0
	s_waitcnt vmcnt(11) lgkmcnt(5)
	v_mul_f64 v[50:51], v[32:33], v[4:5]
	v_mul_f64 v[4:5], v[30:31], v[4:5]
	s_waitcnt vmcnt(9) lgkmcnt(3)
	v_mul_f64 v[64:65], v[58:59], v[12:13]
	v_mul_f64 v[12:13], v[56:57], v[12:13]
	v_fma_f64 v[82:83], v[30:31], v[2:3], -v[50:51]
	v_mul_f64 v[50:51], v[40:41], v[8:9]
	v_fma_f64 v[84:85], v[32:33], v[2:3], v[4:5]
	v_mul_f64 v[8:9], v[38:39], v[8:9]
	global_load_dwordx4 v[2:5], v66, s[12:13] offset:816
	global_load_dwordx4 v[30:33], v66, s[12:13] offset:832
	v_fma_f64 v[204:205], v[56:57], v[10:11], -v[64:65]
	v_fma_f64 v[206:207], v[58:59], v[10:11], v[12:13]
	v_fma_f64 v[200:201], v[38:39], v[6:7], -v[50:51]
	v_mul_u32_u24_sdwa v38, v120, s8 dst_sel:DWORD dst_unused:UNUSED_PAD src0_sel:WORD_0 src1_sel:DWORD
	v_fma_f64 v[202:203], v[40:41], v[6:7], v[8:9]
	v_lshrrev_b32_e32 v138, 21, v38
	global_load_dwordx4 v[38:41], v66, s[12:13] offset:864
	v_mul_lo_u16_e32 v50, 60, v138
	v_sub_u16_e32 v139, v120, v50
	v_mul_u32_u24_e32 v50, 5, v139
	v_lshlrev_b32_e32 v72, 4, v50
	global_load_dwordx4 v[148:151], v72, s[12:13] offset:800
	ds_read_b128 v[66:69], v122 offset:32256
	s_waitcnt vmcnt(12) lgkmcnt(2)
	v_mul_f64 v[50:51], v[62:63], v[16:17]
	global_load_dwordx4 v[152:155], v72, s[12:13] offset:816
	global_load_dwordx4 v[10:13], v72, s[12:13] offset:832
	v_mul_f64 v[16:17], v[60:61], v[16:17]
	ds_read_b128 v[6:9], v122 offset:38400
	v_fma_f64 v[208:209], v[60:61], v[14:15], -v[50:51]
	v_mul_u32_u24_sdwa v50, v114, s8 dst_sel:DWORD dst_unused:UNUSED_PAD src0_sel:WORD_0 src1_sel:DWORD
	v_lshrrev_b32_e32 v136, 21, v50
	v_mul_lo_u16_e32 v50, 60, v136
	v_sub_u16_e32 v137, v114, v50
	v_mul_u32_u24_e32 v50, 5, v137
	v_lshlrev_b32_e32 v60, 4, v50
	v_fma_f64 v[210:211], v[62:63], v[14:15], v[16:17]
	global_load_dwordx4 v[14:17], v72, s[12:13] offset:848
	global_load_dwordx4 v[160:163], v72, s[12:13] offset:864
	;; [unrolled: 1-line block ×7, first 2 shown]
	s_waitcnt vmcnt(20) lgkmcnt(0)
	v_mul_f64 v[70:71], v[8:9], v[20:21]
	ds_read_b128 v[56:59], v122 offset:9216
	ds_read_b128 v[176:179], v122 offset:13824
	v_mul_f64 v[20:21], v[6:7], v[20:21]
	ds_read_b128 v[62:65], v122 offset:16896
	s_waitcnt vmcnt(16)
	v_mul_f64 v[60:61], v[68:69], v[44:45]
	s_waitcnt lgkmcnt(2)
	v_mul_f64 v[50:51], v[58:59], v[24:25]
	v_mul_f64 v[44:45], v[66:67], v[44:45]
	v_fma_f64 v[212:213], v[6:7], v[18:19], -v[70:71]
	v_mul_f64 v[6:7], v[56:57], v[24:25]
	ds_read_b128 v[168:171], v122
	v_fma_f64 v[214:215], v[8:9], v[18:19], v[20:21]
	ds_read_b128 v[18:21], v122 offset:26112
	v_fma_f64 v[66:67], v[66:67], v[42:43], -v[60:61]
	v_fma_f64 v[70:71], v[56:57], v[22:23], -v[50:51]
	v_fma_f64 v[68:69], v[68:69], v[42:43], v[44:45]
	v_fma_f64 v[72:73], v[58:59], v[22:23], v[6:7]
	ds_read_b128 v[6:9], v122 offset:24576
	s_waitcnt lgkmcnt(3)
	v_mul_f64 v[24:25], v[64:65], v[28:29]
	v_mul_f64 v[28:29], v[62:63], v[28:29]
	s_waitcnt lgkmcnt(0)
	v_mul_f64 v[50:51], v[8:9], v[36:37]
	v_mul_f64 v[36:37], v[6:7], v[36:37]
	v_fma_f64 v[62:63], v[62:63], v[26:27], -v[24:25]
	ds_read_b128 v[22:25], v122 offset:39936
	v_fma_f64 v[64:65], v[64:65], v[26:27], v[28:29]
	ds_read_b128 v[26:29], v122 offset:41472
	ds_read_b128 v[56:59], v122 offset:10752
	v_fma_f64 v[76:77], v[6:7], v[34:35], -v[50:51]
	ds_read_b128 v[192:195], v122 offset:12288
	v_fma_f64 v[80:81], v[8:9], v[34:35], v[36:37]
	ds_read_b128 v[6:9], v122 offset:18432
	s_waitcnt vmcnt(15) lgkmcnt(4)
	v_mul_f64 v[74:75], v[24:25], v[48:49]
	v_mul_f64 v[48:49], v[22:23], v[48:49]
	s_waitcnt vmcnt(14) lgkmcnt(2)
	v_mul_f64 v[50:51], v[58:59], v[54:55]
	v_mul_f64 v[42:43], v[56:57], v[54:55]
	ds_read_b128 v[34:37], v122 offset:33792
	ds_read_b128 v[196:199], v122 offset:35328
	s_waitcnt vmcnt(12) lgkmcnt(2)
	v_mul_f64 v[44:45], v[8:9], v[4:5]
	v_fma_f64 v[74:75], v[22:23], v[46:47], -v[74:75]
	v_fma_f64 v[78:79], v[24:25], v[46:47], v[48:49]
	v_fma_f64 v[50:51], v[56:57], v[52:53], -v[50:51]
	v_mul_f64 v[4:5], v[6:7], v[4:5]
	s_waitcnt vmcnt(11)
	v_mul_f64 v[46:47], v[20:21], v[32:33]
	v_mul_f64 v[32:33], v[18:19], v[32:33]
	v_fma_f64 v[52:53], v[58:59], v[52:53], v[42:43]
	v_fma_f64 v[42:43], v[6:7], v[2:3], -v[44:45]
	s_waitcnt vmcnt(10)
	v_mul_f64 v[6:7], v[28:29], v[40:41]
	ds_read_b128 v[22:25], v122 offset:19968
	s_waitcnt lgkmcnt(2)
	v_mul_f64 v[48:49], v[36:37], v[146:147]
	v_mul_f64 v[60:61], v[34:35], v[146:147]
	v_fma_f64 v[44:45], v[8:9], v[2:3], v[4:5]
	ds_read_b128 v[2:5], v122 offset:27648
	v_fma_f64 v[56:57], v[20:21], v[30:31], v[32:33]
	v_mul_f64 v[8:9], v[26:27], v[40:41]
	s_waitcnt vmcnt(9)
	v_mul_f64 v[20:21], v[192:193], v[150:151]
	v_fma_f64 v[58:59], v[26:27], v[38:39], -v[6:7]
	s_waitcnt vmcnt(8) lgkmcnt(1)
	v_mul_f64 v[6:7], v[22:23], v[154:155]
	v_fma_f64 v[54:55], v[18:19], v[30:31], -v[46:47]
	v_fma_f64 v[46:47], v[34:35], v[144:145], -v[48:49]
	v_mul_f64 v[18:19], v[194:195], v[150:151]
	v_mul_f64 v[34:35], v[24:25], v[154:155]
	s_waitcnt vmcnt(7) lgkmcnt(0)
	v_mul_f64 v[26:27], v[4:5], v[12:13]
	v_mul_f64 v[12:13], v[2:3], v[12:13]
	v_fma_f64 v[48:49], v[36:37], v[144:145], v[60:61]
	v_fma_f64 v[60:61], v[28:29], v[38:39], v[8:9]
	v_fma_f64 v[32:33], v[194:195], v[148:149], v[20:21]
	v_fma_f64 v[20:21], v[24:25], v[152:153], v[6:7]
	ds_read_b128 v[6:9], v122 offset:43008
	v_fma_f64 v[30:31], v[192:193], v[148:149], -v[18:19]
	v_fma_f64 v[18:19], v[22:23], v[152:153], -v[34:35]
	ds_read_b128 v[22:25], v122 offset:44544
	v_fma_f64 v[34:35], v[2:3], v[10:11], -v[26:27]
	s_waitcnt vmcnt(5) lgkmcnt(1)
	v_mul_f64 v[38:39], v[8:9], v[162:163]
	v_fma_f64 v[36:37], v[4:5], v[10:11], v[12:13]
	v_mul_f64 v[4:5], v[6:7], v[162:163]
	s_waitcnt vmcnt(4)
	v_mul_f64 v[10:11], v[178:179], v[166:167]
	v_mul_f64 v[12:13], v[176:177], v[166:167]
	ds_read_b128 v[144:147], v122 offset:29184
	v_mul_f64 v[2:3], v[198:199], v[16:17]
	v_mul_f64 v[16:17], v[196:197], v[16:17]
	v_fma_f64 v[38:39], v[6:7], v[160:161], -v[38:39]
	s_waitcnt vmcnt(0) lgkmcnt(1)
	v_mul_f64 v[148:149], v[22:23], v[190:191]
	v_fma_f64 v[40:41], v[8:9], v[160:161], v[4:5]
	v_fma_f64 v[6:7], v[176:177], v[164:165], -v[10:11]
	v_fma_f64 v[8:9], v[178:179], v[164:165], v[12:13]
	s_waitcnt lgkmcnt(0)
	v_mul_f64 v[10:11], v[146:147], v[182:183]
	v_mul_f64 v[12:13], v[144:145], v[182:183]
	v_fma_f64 v[26:27], v[196:197], v[14:15], -v[2:3]
	v_fma_f64 v[28:29], v[198:199], v[14:15], v[16:17]
	v_mul_f64 v[2:3], v[142:143], v[174:175]
	v_mul_f64 v[14:15], v[140:141], v[174:175]
	;; [unrolled: 1-line block ×3, first 2 shown]
	v_add_f64 v[150:151], v[206:207], -v[214:215]
	v_fma_f64 v[10:11], v[144:145], v[180:181], -v[10:11]
	v_fma_f64 v[12:13], v[146:147], v[180:181], v[12:13]
	v_add_f64 v[144:145], v[206:207], v[214:215]
	v_add_f64 v[146:147], v[204:205], v[212:213]
	v_fma_f64 v[2:3], v[140:141], v[172:173], -v[2:3]
	v_fma_f64 v[4:5], v[142:143], v[172:173], v[14:15]
	v_mul_f64 v[140:141], v[156:157], v[186:187]
	v_mul_f64 v[142:143], v[24:25], v[190:191]
	v_fma_f64 v[24:25], v[24:25], v[188:189], v[148:149]
	v_add_f64 v[148:149], v[204:205], -v[212:213]
	v_fma_f64 v[144:145], v[144:145], -0.5, v[84:85]
	v_fma_f64 v[146:147], v[146:147], -0.5, v[82:83]
	v_fma_f64 v[14:15], v[156:157], v[184:185], -v[16:17]
	v_add_f64 v[152:153], v[168:169], v[200:201]
	v_fma_f64 v[16:17], v[158:159], v[184:185], v[140:141]
	v_fma_f64 v[22:23], v[22:23], v[188:189], -v[142:143]
	v_add_f64 v[140:141], v[200:201], v[208:209]
	v_add_f64 v[142:143], v[202:203], v[210:211]
	v_fma_f64 v[156:157], v[148:149], s[6:7], v[144:145]
	v_fma_f64 v[158:159], v[150:151], s[4:5], v[146:147]
	v_add_f64 v[154:155], v[170:171], v[202:203]
	v_add_f64 v[82:83], v[82:83], v[204:205]
	;; [unrolled: 1-line block ×3, first 2 shown]
	v_fma_f64 v[146:147], v[150:151], s[6:7], v[146:147]
	v_fma_f64 v[144:145], v[148:149], s[4:5], v[144:145]
	v_fma_f64 v[140:141], v[140:141], -0.5, v[168:169]
	v_fma_f64 v[142:143], v[142:143], -0.5, v[170:171]
	v_mul_f64 v[148:149], v[156:157], s[4:5]
	v_mul_f64 v[150:151], v[158:159], s[6:7]
	v_add_f64 v[164:165], v[202:203], -v[210:211]
	v_add_f64 v[166:167], v[200:201], -v[208:209]
	v_add_f64 v[152:153], v[152:153], v[208:209]
	v_add_f64 v[154:155], v[154:155], v[210:211]
	;; [unrolled: 1-line block ×4, first 2 shown]
	v_mul_f64 v[168:169], v[146:147], -0.5
	v_mul_f64 v[170:171], v[144:145], -0.5
	v_fma_f64 v[148:149], v[158:159], 0.5, v[148:149]
	v_fma_f64 v[150:151], v[156:157], 0.5, v[150:151]
	v_fma_f64 v[156:157], v[164:165], s[4:5], v[140:141]
	v_fma_f64 v[158:159], v[166:167], s[6:7], v[142:143]
	v_add_f64 v[82:83], v[152:153], v[160:161]
	v_add_f64 v[84:85], v[154:155], v[162:163]
	v_fma_f64 v[164:165], v[164:165], s[6:7], v[140:141]
	v_fma_f64 v[166:167], v[166:167], s[4:5], v[142:143]
	;; [unrolled: 1-line block ×4, first 2 shown]
	v_add_f64 v[144:145], v[156:157], v[148:149]
	v_add_f64 v[146:147], v[158:159], v[150:151]
	v_add_f64 v[140:141], v[152:153], -v[160:161]
	v_mov_b32_e32 v160, 0x1680
	v_cndmask_b32_e32 v160, 0, v160, vcc
	v_add3_u32 v135, 0, v160, v135
	v_add_f64 v[142:143], v[154:155], -v[162:163]
	v_add_f64 v[148:149], v[156:157], -v[148:149]
	;; [unrolled: 1-line block ×3, first 2 shown]
	v_add_f64 v[152:153], v[164:165], v[168:169]
	v_add_f64 v[154:155], v[166:167], v[170:171]
	v_add_f64 v[156:157], v[164:165], -v[168:169]
	v_add_f64 v[158:159], v[166:167], -v[170:171]
	ds_read_b128 v[160:163], v129
	ds_read_b128 v[164:167], v128
	;; [unrolled: 1-line block ×4, first 2 shown]
	s_waitcnt lgkmcnt(0)
	s_barrier
	ds_write_b128 v135, v[82:85]
	ds_write_b128 v135, v[144:147] offset:960
	v_add_f64 v[82:83], v[80:81], v[78:79]
	v_add_f64 v[84:85], v[76:77], v[74:75]
	ds_write_b128 v135, v[152:155] offset:1920
	ds_write_b128 v135, v[140:143] offset:2880
	;; [unrolled: 1-line block ×4, first 2 shown]
	v_add_f64 v[140:141], v[62:63], v[66:67]
	v_add_f64 v[142:143], v[64:65], v[68:69]
	v_add_f64 v[144:145], v[76:77], -v[74:75]
	v_add_f64 v[146:147], v[80:81], -v[78:79]
	v_fma_f64 v[82:83], v[82:83], -0.5, v[72:73]
	v_fma_f64 v[84:85], v[84:85], -0.5, v[70:71]
	v_add_f64 v[70:71], v[70:71], v[76:77]
	v_add_f64 v[72:73], v[72:73], v[80:81]
	;; [unrolled: 1-line block ×4, first 2 shown]
	v_fma_f64 v[76:77], v[140:141], -0.5, v[160:161]
	v_fma_f64 v[80:81], v[142:143], -0.5, v[162:163]
	v_fma_f64 v[140:141], v[144:145], s[6:7], v[82:83]
	v_fma_f64 v[142:143], v[146:147], s[4:5], v[84:85]
	v_add_f64 v[70:71], v[70:71], v[74:75]
	v_add_f64 v[72:73], v[72:73], v[78:79]
	v_fma_f64 v[74:75], v[146:147], s[6:7], v[84:85]
	v_fma_f64 v[78:79], v[144:145], s[4:5], v[82:83]
	v_add_f64 v[148:149], v[148:149], v[66:67]
	v_add_f64 v[150:151], v[150:151], v[68:69]
	v_mul_f64 v[82:83], v[140:141], s[4:5]
	v_mul_f64 v[84:85], v[142:143], s[6:7]
	v_add_f64 v[68:69], v[64:65], -v[68:69]
	v_add_f64 v[66:67], v[62:63], -v[66:67]
	v_mul_f64 v[144:145], v[74:75], -0.5
	v_mul_f64 v[146:147], v[78:79], -0.5
	v_add_f64 v[62:63], v[148:149], v[70:71]
	v_add_f64 v[64:65], v[150:151], v[72:73]
	v_fma_f64 v[82:83], v[142:143], 0.5, v[82:83]
	v_fma_f64 v[84:85], v[140:141], 0.5, v[84:85]
	v_fma_f64 v[140:141], v[68:69], s[4:5], v[76:77]
	v_fma_f64 v[142:143], v[66:67], s[6:7], v[80:81]
	;; [unrolled: 1-line block ×6, first 2 shown]
	v_add_f64 v[66:67], v[148:149], -v[70:71]
	v_add_f64 v[68:69], v[150:151], -v[72:73]
	v_add_f64 v[70:71], v[140:141], v[82:83]
	v_add_f64 v[72:73], v[142:143], v[84:85]
	ds_write_b128 v131, v[62:65]
	ds_write_b128 v131, v[70:73] offset:960
	v_add_f64 v[78:79], v[152:153], v[144:145]
	v_add_f64 v[80:81], v[154:155], v[146:147]
	;; [unrolled: 1-line block ×4, first 2 shown]
	v_add_f64 v[74:75], v[140:141], -v[82:83]
	v_add_f64 v[76:77], v[142:143], -v[84:85]
	v_add_f64 v[82:83], v[152:153], -v[144:145]
	v_add_f64 v[84:85], v[154:155], -v[146:147]
	v_add_f64 v[70:71], v[54:55], -v[58:59]
	ds_write_b128 v131, v[78:81] offset:1920
	ds_write_b128 v131, v[66:69] offset:2880
	;; [unrolled: 1-line block ×4, first 2 shown]
	v_add_f64 v[66:67], v[42:43], v[46:47]
	v_add_f64 v[68:69], v[44:45], v[48:49]
	v_fma_f64 v[62:63], v[62:63], -0.5, v[52:53]
	v_fma_f64 v[64:65], v[64:65], -0.5, v[50:51]
	v_add_f64 v[72:73], v[56:57], -v[60:61]
	v_add_f64 v[50:51], v[50:51], v[54:55]
	v_add_f64 v[52:53], v[52:53], v[56:57]
	;; [unrolled: 1-line block ×4, first 2 shown]
	v_fma_f64 v[54:55], v[66:67], -0.5, v[164:165]
	v_fma_f64 v[56:57], v[68:69], -0.5, v[166:167]
	v_fma_f64 v[66:67], v[70:71], s[6:7], v[62:63]
	v_fma_f64 v[68:69], v[72:73], s[4:5], v[64:65]
	v_add_f64 v[50:51], v[50:51], v[58:59]
	v_add_f64 v[52:53], v[52:53], v[60:61]
	v_fma_f64 v[58:59], v[72:73], s[6:7], v[64:65]
	v_fma_f64 v[60:61], v[70:71], s[4:5], v[62:63]
	v_add_f64 v[74:75], v[74:75], v[46:47]
	v_add_f64 v[76:77], v[76:77], v[48:49]
	v_mul_f64 v[62:63], v[66:67], s[4:5]
	v_mul_f64 v[64:65], v[68:69], s[6:7]
	v_add_f64 v[48:49], v[44:45], -v[48:49]
	v_add_f64 v[46:47], v[42:43], -v[46:47]
	v_mul_f64 v[70:71], v[58:59], -0.5
	v_mul_f64 v[72:73], v[60:61], -0.5
	v_add_f64 v[42:43], v[74:75], v[50:51]
	v_add_f64 v[44:45], v[76:77], v[52:53]
	v_fma_f64 v[62:63], v[68:69], 0.5, v[62:63]
	v_fma_f64 v[64:65], v[66:67], 0.5, v[64:65]
	v_fma_f64 v[66:67], v[48:49], s[4:5], v[54:55]
	v_fma_f64 v[68:69], v[46:47], s[6:7], v[56:57]
	;; [unrolled: 1-line block ×6, first 2 shown]
	v_add_f64 v[46:47], v[74:75], -v[50:51]
	v_add_f64 v[48:49], v[76:77], -v[52:53]
	v_add_f64 v[50:51], v[66:67], v[62:63]
	v_add_f64 v[52:53], v[68:69], v[64:65]
	v_add_f64 v[54:55], v[66:67], -v[62:63]
	v_lshlrev_b32_e32 v66, 4, v132
	v_add3_u32 v0, 0, v0, v66
	v_add_f64 v[58:59], v[78:79], v[70:71]
	v_add_f64 v[60:61], v[80:81], v[72:73]
	ds_write_b128 v0, v[42:45]
	ds_write_b128 v0, v[50:53] offset:960
	v_add_f64 v[42:43], v[36:37], v[40:41]
	v_add_f64 v[44:45], v[34:35], v[38:39]
	v_add_f64 v[56:57], v[68:69], -v[64:65]
	v_add_f64 v[62:63], v[78:79], -v[70:71]
	;; [unrolled: 1-line block ×3, first 2 shown]
	ds_write_b128 v0, v[58:61] offset:1920
	ds_write_b128 v0, v[46:49] offset:2880
	ds_write_b128 v0, v[54:57] offset:3840
	ds_write_b128 v0, v[62:65] offset:4800
	v_add_f64 v[46:47], v[18:19], v[26:27]
	v_add_f64 v[48:49], v[20:21], v[28:29]
	v_fma_f64 v[42:43], v[42:43], -0.5, v[32:33]
	v_add_f64 v[50:51], v[34:35], -v[38:39]
	v_fma_f64 v[44:45], v[44:45], -0.5, v[30:31]
	v_add_f64 v[52:53], v[36:37], -v[40:41]
	v_add_f64 v[30:31], v[30:31], v[34:35]
	v_add_f64 v[32:33], v[32:33], v[36:37]
	v_add_f64 v[54:55], v[168:169], v[18:19]
	v_add_f64 v[56:57], v[170:171], v[20:21]
	v_fma_f64 v[34:35], v[46:47], -0.5, v[168:169]
	v_fma_f64 v[36:37], v[48:49], -0.5, v[170:171]
	v_fma_f64 v[46:47], v[50:51], s[6:7], v[42:43]
	v_fma_f64 v[48:49], v[52:53], s[4:5], v[44:45]
	v_add_f64 v[30:31], v[30:31], v[38:39]
	v_add_f64 v[32:33], v[32:33], v[40:41]
	v_fma_f64 v[38:39], v[52:53], s[6:7], v[44:45]
	v_fma_f64 v[40:41], v[50:51], s[4:5], v[42:43]
	v_add_f64 v[54:55], v[54:55], v[26:27]
	v_add_f64 v[56:57], v[56:57], v[28:29]
	v_mul_f64 v[42:43], v[46:47], s[4:5]
	v_mul_f64 v[44:45], v[48:49], s[6:7]
	v_add_f64 v[28:29], v[20:21], -v[28:29]
	v_add_f64 v[26:27], v[18:19], -v[26:27]
	v_mul_f64 v[50:51], v[38:39], -0.5
	v_mul_f64 v[52:53], v[40:41], -0.5
	v_add_f64 v[18:19], v[54:55], v[30:31]
	v_add_f64 v[20:21], v[56:57], v[32:33]
	v_fma_f64 v[42:43], v[48:49], 0.5, v[42:43]
	v_fma_f64 v[44:45], v[46:47], 0.5, v[44:45]
	v_fma_f64 v[46:47], v[28:29], s[4:5], v[34:35]
	v_fma_f64 v[48:49], v[26:27], s[6:7], v[36:37]
	;; [unrolled: 1-line block ×6, first 2 shown]
	v_add_f64 v[26:27], v[54:55], -v[30:31]
	v_add_f64 v[28:29], v[56:57], -v[32:33]
	v_add_f64 v[30:31], v[46:47], v[42:43]
	v_add_f64 v[32:33], v[48:49], v[44:45]
	v_add_f64 v[34:35], v[46:47], -v[42:43]
	v_mul_u32_u24_e32 v0, 0x1680, v138
	v_lshlrev_b32_e32 v46, 4, v139
	v_add3_u32 v0, 0, v0, v46
	v_add_f64 v[38:39], v[58:59], v[50:51]
	v_add_f64 v[40:41], v[60:61], v[52:53]
	ds_write_b128 v0, v[18:21]
	ds_write_b128 v0, v[30:33] offset:960
	v_add_f64 v[18:19], v[12:13], v[24:25]
	v_add_f64 v[20:21], v[10:11], v[22:23]
	v_add_f64 v[36:37], v[48:49], -v[44:45]
	v_add_f64 v[42:43], v[58:59], -v[50:51]
	;; [unrolled: 1-line block ×4, first 2 shown]
	ds_write_b128 v0, v[38:41] offset:1920
	ds_write_b128 v0, v[26:29] offset:2880
	;; [unrolled: 1-line block ×4, first 2 shown]
	v_add_f64 v[26:27], v[2:3], v[14:15]
	v_add_f64 v[28:29], v[4:5], v[16:17]
	v_fma_f64 v[18:19], v[18:19], -0.5, v[8:9]
	v_fma_f64 v[20:21], v[20:21], -0.5, v[6:7]
	v_add_f64 v[32:33], v[12:13], -v[24:25]
	v_add_f64 v[34:35], v[172:173], v[2:3]
	v_add_f64 v[36:37], v[174:175], v[4:5]
	;; [unrolled: 1-line block ×4, first 2 shown]
	v_fma_f64 v[10:11], v[26:27], -0.5, v[172:173]
	v_fma_f64 v[12:13], v[28:29], -0.5, v[174:175]
	v_fma_f64 v[26:27], v[30:31], s[6:7], v[18:19]
	v_fma_f64 v[28:29], v[32:33], s[4:5], v[20:21]
	;; [unrolled: 1-line block ×4, first 2 shown]
	v_add_f64 v[34:35], v[34:35], v[14:15]
	v_add_f64 v[36:37], v[36:37], v[16:17]
	;; [unrolled: 1-line block ×4, first 2 shown]
	v_mul_f64 v[22:23], v[26:27], s[4:5]
	v_mul_f64 v[24:25], v[28:29], s[6:7]
	v_add_f64 v[16:17], v[4:5], -v[16:17]
	v_add_f64 v[14:15], v[2:3], -v[14:15]
	v_mul_f64 v[30:31], v[20:21], -0.5
	v_mul_f64 v[32:33], v[18:19], -0.5
	v_add_f64 v[2:3], v[34:35], v[6:7]
	v_add_f64 v[4:5], v[36:37], v[8:9]
	v_fma_f64 v[22:23], v[28:29], 0.5, v[22:23]
	v_fma_f64 v[24:25], v[26:27], 0.5, v[24:25]
	v_fma_f64 v[26:27], v[16:17], s[4:5], v[10:11]
	v_fma_f64 v[28:29], v[14:15], s[6:7], v[12:13]
	;; [unrolled: 1-line block ×6, first 2 shown]
	v_add_f64 v[6:7], v[34:35], -v[6:7]
	v_add_f64 v[8:9], v[36:37], -v[8:9]
	v_add_f64 v[10:11], v[26:27], v[22:23]
	v_add_f64 v[12:13], v[28:29], v[24:25]
	v_add_f64 v[14:15], v[26:27], -v[22:23]
	v_add_f64 v[16:17], v[28:29], -v[24:25]
	v_add_f64 v[18:19], v[38:39], v[30:31]
	v_add_f64 v[20:21], v[40:41], v[32:33]
	v_add_f64 v[22:23], v[38:39], -v[30:31]
	v_add_f64 v[24:25], v[40:41], -v[32:33]
	v_mul_u32_u24_e32 v0, 0x1680, v136
	v_lshlrev_b32_e32 v26, 4, v137
	v_add3_u32 v0, 0, v0, v26
	ds_write_b128 v0, v[2:5]
	ds_write_b128 v0, v[10:13] offset:960
	ds_write_b128 v0, v[18:21] offset:1920
	;; [unrolled: 1-line block ×5, first 2 shown]
	v_lshlrev_b64 v[4:5], 4, v[88:89]
	s_movk_i32 s5, 0x1000
	v_add_co_u32_e32 v6, vcc, s12, v4
	v_addc_co_u32_e32 v7, vcc, v130, v5, vcc
	v_add_co_u32_e32 v2, vcc, s5, v6
	v_lshlrev_b64 v[14:15], 4, v[96:97]
	v_addc_co_u32_e32 v3, vcc, 0, v7, vcc
	v_add_co_u32_e32 v9, vcc, s12, v14
	v_addc_co_u32_e32 v8, vcc, v130, v15, vcc
	v_add_co_u32_e32 v16, vcc, s5, v9
	v_addc_co_u32_e32 v17, vcc, 0, v8, vcc
	s_movk_i32 s4, 0x48
	v_add_u32_e32 v0, 0xffffffb8, v88
	v_cmp_gt_u32_e32 vcc, s4, v88
	v_cndmask_b32_e32 v0, v0, v120, vcc
	v_lshlrev_b64 v[10:11], 4, v[0:1]
	v_lshlrev_b64 v[12:13], 4, v[94:95]
	v_add_co_u32_e32 v20, vcc, s12, v10
	v_addc_co_u32_e32 v21, vcc, v130, v11, vcc
	v_add_co_u32_e32 v10, vcc, s12, v12
	v_addc_co_u32_e32 v11, vcc, v130, v13, vcc
	;; [unrolled: 2-line block ×3, first 2 shown]
	v_add_co_u32_e32 v20, vcc, s5, v20
	s_movk_i32 s6, 0x2d83
	s_waitcnt lgkmcnt(0)
	s_barrier
	v_addc_co_u32_e32 v21, vcc, 0, v21, vcc
	global_load_dwordx4 v[26:29], v[18:19], off offset:1504
	global_load_dwordx4 v[30:33], v[20:21], off offset:1504
	;; [unrolled: 1-line block ×6, first 2 shown]
	v_mul_u32_u24_sdwa v16, v112, s6 dst_sel:DWORD dst_unused:UNUSED_PAD src0_sel:WORD_0 src1_sel:DWORD
	v_lshrrev_b32_e32 v17, 22, v16
	s_movk_i32 s4, 0x2000
	v_mul_lo_u16_e32 v16, 0x168, v17
	v_add_co_u32_e32 v2, vcc, s4, v6
	v_sub_u16_e32 v16, v112, v16
	v_addc_co_u32_e32 v3, vcc, 0, v7, vcc
	v_lshlrev_b32_e32 v18, 4, v16
	v_add_co_u32_e32 v16, vcc, s12, v18
	v_addc_co_u32_e32 v20, vcc, 0, v130, vcc
	v_add_co_u32_e32 v19, vcc, s5, v16
	v_mul_u32_u24_sdwa v16, v100, s6 dst_sel:DWORD dst_unused:UNUSED_PAD src0_sel:WORD_0 src1_sel:DWORD
	v_lshrrev_b32_e32 v16, 22, v16
	v_mul_lo_u16_e32 v16, 0x168, v16
	v_sub_u16_e32 v16, v100, v16
	v_addc_co_u32_e32 v20, vcc, 0, v20, vcc
	v_lshlrev_b32_e32 v16, 4, v16
	global_load_dwordx4 v[50:53], v[2:3], off offset:864
	global_load_dwordx4 v[54:57], v[19:20], off offset:1504
	v_add_co_u32_e32 v19, vcc, s12, v16
	v_addc_co_u32_e32 v21, vcc, 0, v130, vcc
	v_add_co_u32_e32 v20, vcc, s5, v19
	v_mul_u32_u24_sdwa v19, v110, s6 dst_sel:DWORD dst_unused:UNUSED_PAD src0_sel:WORD_0 src1_sel:DWORD
	v_lshrrev_b32_e32 v19, 22, v19
	v_mul_lo_u16_e32 v19, 0x168, v19
	v_sub_u16_e32 v19, v110, v19
	v_addc_co_u32_e32 v21, vcc, 0, v21, vcc
	v_lshlrev_b32_e32 v19, 4, v19
	v_add_co_u32_e32 v22, vcc, s12, v19
	v_addc_co_u32_e32 v23, vcc, 0, v130, vcc
	v_add_co_u32_e32 v22, vcc, s5, v22
	v_addc_co_u32_e32 v23, vcc, 0, v23, vcc
	global_load_dwordx4 v[58:61], v[20:21], off offset:1504
	global_load_dwordx4 v[62:65], v[22:23], off offset:1504
	v_mul_u32_u24_sdwa v20, v108, s6 dst_sel:DWORD dst_unused:UNUSED_PAD src0_sel:WORD_0 src1_sel:DWORD
	v_lshrrev_b32_e32 v20, 22, v20
	v_mul_lo_u16_e32 v20, 0x168, v20
	v_sub_u16_e32 v20, v108, v20
	v_lshlrev_b32_e32 v20, 4, v20
	v_add_co_u32_e32 v21, vcc, s12, v20
	v_addc_co_u32_e32 v22, vcc, 0, v130, vcc
	v_add_co_u32_e32 v24, vcc, s5, v21
	v_mul_u32_u24_sdwa v21, v106, s6 dst_sel:DWORD dst_unused:UNUSED_PAD src0_sel:WORD_0 src1_sel:DWORD
	v_lshrrev_b32_e32 v23, 22, v21
	v_mul_lo_u16_e32 v21, 0x168, v23
	v_sub_u16_e32 v21, v106, v21
	v_addc_co_u32_e32 v25, vcc, 0, v22, vcc
	v_lshlrev_b32_e32 v21, 4, v21
	v_add_co_u32_e32 v22, vcc, s12, v21
	v_addc_co_u32_e32 v66, vcc, 0, v130, vcc
	v_add_co_u32_e32 v74, vcc, s5, v22
	v_mul_u32_u24_sdwa v22, v98, s6 dst_sel:DWORD dst_unused:UNUSED_PAD src0_sel:WORD_0 src1_sel:DWORD
	v_lshrrev_b32_e32 v22, 22, v22
	v_mul_lo_u16_e32 v22, 0x168, v22
	v_sub_u16_e32 v22, v98, v22
	v_addc_co_u32_e32 v75, vcc, 0, v66, vcc
	v_lshlrev_b32_e32 v22, 4, v22
	global_load_dwordx4 v[66:69], v[24:25], off offset:1504
	global_load_dwordx4 v[70:73], v[74:75], off offset:1504
	v_add_co_u32_e32 v24, vcc, s12, v22
	v_addc_co_u32_e32 v25, vcc, 0, v130, vcc
	v_add_co_u32_e32 v82, vcc, s5, v24
	v_mul_u32_u24_sdwa v24, v102, s6 dst_sel:DWORD dst_unused:UNUSED_PAD src0_sel:WORD_0 src1_sel:DWORD
	v_lshrrev_b32_e32 v24, 22, v24
	v_mul_lo_u16_e32 v24, 0x168, v24
	v_sub_u16_e32 v24, v102, v24
	v_addc_co_u32_e32 v83, vcc, 0, v25, vcc
	v_lshlrev_b32_e32 v24, 4, v24
	v_add_co_u32_e32 v25, vcc, s12, v24
	v_addc_co_u32_e32 v74, vcc, 0, v130, vcc
	v_add_co_u32_e32 v84, vcc, s5, v25
	v_mul_u32_u24_sdwa v25, v104, s6 dst_sel:DWORD dst_unused:UNUSED_PAD src0_sel:WORD_0 src1_sel:DWORD
	v_lshrrev_b32_e32 v25, 22, v25
	v_mul_lo_u16_e32 v25, 0x168, v25
	v_sub_u16_e32 v25, v104, v25
	v_addc_co_u32_e32 v85, vcc, 0, v74, vcc
	v_lshlrev_b32_e32 v25, 4, v25
	global_load_dwordx4 v[74:77], v[82:83], off offset:1504
	global_load_dwordx4 v[78:81], v[84:85], off offset:1504
	v_add_co_u32_e32 v82, vcc, s12, v25
	v_addc_co_u32_e32 v83, vcc, 0, v130, vcc
	v_add_co_u32_e32 v82, vcc, s5, v82
	v_addc_co_u32_e32 v83, vcc, 0, v83, vcc
	global_load_dwordx4 v[82:85], v[82:83], off offset:1504
	ds_read_b128 v[131:134], v122 offset:23040
	ds_read_b128 v[135:138], v122
	ds_read_b128 v[139:142], v122 offset:24576
	ds_read_b128 v[147:150], v122 offset:27648
	;; [unrolled: 1-line block ×3, first 2 shown]
	s_waitcnt vmcnt(12) lgkmcnt(4)
	v_mul_f64 v[143:144], v[133:134], v[36:37]
	v_mul_f64 v[36:37], v[131:132], v[36:37]
	s_movk_i32 s5, 0x47
	s_waitcnt lgkmcnt(1)
	v_mul_f64 v[159:160], v[149:150], v[32:33]
	v_mul_f64 v[161:162], v[147:148], v[32:33]
	s_waitcnt vmcnt(11) lgkmcnt(0)
	v_mul_f64 v[163:164], v[153:154], v[40:41]
	v_cmp_lt_u32_e32 vcc, s5, v88
	v_lshlrev_b32_e32 v0, 4, v0
	v_fma_f64 v[155:156], v[131:132], v[34:35], -v[143:144]
	ds_read_b128 v[143:146], v122 offset:26112
	s_waitcnt vmcnt(10)
	v_mul_f64 v[131:132], v[141:142], v[44:45]
	v_mul_f64 v[44:45], v[139:140], v[44:45]
	v_fma_f64 v[133:134], v[133:134], v[34:35], v[36:37]
	ds_read_b128 v[32:35], v122 offset:30720
	s_waitcnt lgkmcnt(1)
	v_mul_f64 v[157:158], v[145:146], v[28:29]
	v_mul_f64 v[28:29], v[143:144], v[28:29]
	;; [unrolled: 1-line block ×3, first 2 shown]
	s_movk_i32 s5, 0x3000
	v_fma_f64 v[131:132], v[139:140], v[42:43], -v[131:132]
	v_fma_f64 v[44:45], v[141:142], v[42:43], v[44:45]
	s_add_u32 s6, s12, 0xb360
	s_addc_u32 s7, s13, 0
	v_fma_f64 v[139:140], v[143:144], v[26:27], -v[157:158]
	v_fma_f64 v[141:142], v[145:146], v[26:27], v[28:29]
	ds_read_b128 v[26:29], v122 offset:32256
	s_waitcnt vmcnt(9) lgkmcnt(1)
	v_mul_f64 v[40:41], v[34:35], v[48:49]
	v_mul_f64 v[42:43], v[32:33], v[48:49]
	v_fma_f64 v[143:144], v[147:148], v[30:31], -v[159:160]
	v_fma_f64 v[145:146], v[149:150], v[30:31], v[161:162]
	s_waitcnt vmcnt(8) lgkmcnt(0)
	v_mul_f64 v[48:49], v[28:29], v[52:53]
	v_fma_f64 v[159:160], v[151:152], v[38:39], -v[163:164]
	v_mul_f64 v[52:53], v[26:27], v[52:53]
	v_fma_f64 v[161:162], v[153:154], v[38:39], v[36:37]
	ds_read_b128 v[36:39], v122 offset:33792
	v_fma_f64 v[163:164], v[32:33], v[46:47], -v[40:41]
	ds_read_b128 v[30:33], v122 offset:35328
	v_fma_f64 v[165:166], v[34:35], v[46:47], v[42:43]
	v_fma_f64 v[167:168], v[26:27], v[50:51], -v[48:49]
	s_waitcnt vmcnt(7) lgkmcnt(1)
	v_mul_f64 v[34:35], v[38:39], v[56:57]
	v_fma_f64 v[169:170], v[28:29], v[50:51], v[52:53]
	ds_read_b128 v[26:29], v122 offset:36864
	ds_read_b128 v[40:43], v122 offset:38400
	s_waitcnt vmcnt(6) lgkmcnt(2)
	v_mul_f64 v[48:49], v[32:33], v[60:61]
	v_mul_f64 v[50:51], v[30:31], v[60:61]
	;; [unrolled: 1-line block ×3, first 2 shown]
	s_waitcnt vmcnt(5) lgkmcnt(1)
	v_mul_f64 v[52:53], v[28:29], v[64:65]
	v_fma_f64 v[171:172], v[36:37], v[54:55], -v[34:35]
	v_mul_f64 v[34:35], v[26:27], v[64:65]
	s_waitcnt vmcnt(4) lgkmcnt(0)
	v_mul_f64 v[56:57], v[40:41], v[68:69]
	v_mul_f64 v[36:37], v[42:43], v[68:69]
	v_fma_f64 v[175:176], v[30:31], v[58:59], -v[48:49]
	v_fma_f64 v[177:178], v[32:33], v[58:59], v[50:51]
	ds_read_b128 v[30:33], v122 offset:39936
	v_fma_f64 v[179:180], v[26:27], v[62:63], -v[52:53]
	v_fma_f64 v[173:174], v[38:39], v[54:55], v[46:47]
	v_fma_f64 v[181:182], v[28:29], v[62:63], v[34:35]
	ds_read_b128 v[26:29], v122 offset:41472
	v_fma_f64 v[185:186], v[42:43], v[66:67], v[56:57]
	s_waitcnt vmcnt(3) lgkmcnt(1)
	v_mul_f64 v[42:43], v[32:33], v[72:73]
	v_fma_f64 v[183:184], v[40:41], v[66:67], -v[36:37]
	ds_read_b128 v[34:37], v122 offset:43008
	ds_read_b128 v[38:41], v122 offset:44544
	v_mul_f64 v[46:47], v[30:31], v[72:73]
	s_waitcnt vmcnt(2) lgkmcnt(2)
	v_mul_f64 v[48:49], v[28:29], v[76:77]
	v_mul_f64 v[50:51], v[26:27], v[76:77]
	s_waitcnt vmcnt(1) lgkmcnt(1)
	v_mul_f64 v[52:53], v[36:37], v[80:81]
	v_mul_f64 v[54:55], v[34:35], v[80:81]
	v_fma_f64 v[187:188], v[30:31], v[70:71], -v[42:43]
	v_lshl_add_u32 v43, v106, 4, 0
	v_lshl_add_u32 v42, v98, 4, 0
	v_fma_f64 v[189:190], v[26:27], v[74:75], -v[48:49]
	v_fma_f64 v[191:192], v[28:29], v[74:75], v[50:51]
	s_waitcnt vmcnt(0) lgkmcnt(0)
	v_mul_f64 v[30:31], v[38:39], v[84:85]
	v_mul_f64 v[56:57], v[40:41], v[84:85]
	ds_read_b128 v[26:29], v129
	v_fma_f64 v[193:194], v[34:35], v[78:79], -v[52:53]
	v_fma_f64 v[195:196], v[36:37], v[78:79], v[54:55]
	ds_read_b128 v[34:37], v128
	v_fma_f64 v[84:85], v[32:33], v[70:71], v[46:47]
	v_add_f64 v[32:33], v[137:138], -v[133:134]
	v_fma_f64 v[199:200], v[40:41], v[82:83], v[30:31]
	v_add_f64 v[30:31], v[135:136], -v[155:156]
	s_waitcnt lgkmcnt(1)
	v_add_f64 v[48:49], v[26:27], -v[131:132]
	v_add_f64 v[50:51], v[28:29], -v[44:45]
	v_fma_f64 v[197:198], v[38:39], v[82:83], -v[56:57]
	ds_read_b128 v[38:41], v127
	ds_read_b128 v[56:59], v126
	s_waitcnt lgkmcnt(2)
	v_add_f64 v[52:53], v[34:35], -v[139:140]
	v_add_f64 v[54:55], v[36:37], -v[141:142]
	v_fma_f64 v[64:65], v[135:136], 2.0, -v[30:31]
	s_waitcnt lgkmcnt(1)
	v_add_f64 v[62:63], v[40:41], -v[145:146]
	v_fma_f64 v[66:67], v[137:138], 2.0, -v[32:33]
	v_fma_f64 v[26:27], v[26:27], 2.0, -v[48:49]
	v_fma_f64 v[28:29], v[28:29], 2.0, -v[50:51]
	v_lshl_add_u32 v47, v116, 4, 0
	v_fma_f64 v[34:35], v[34:35], 2.0, -v[52:53]
	v_fma_f64 v[36:37], v[36:37], 2.0, -v[54:55]
	v_add_f64 v[60:61], v[38:39], -v[143:144]
	v_fma_f64 v[70:71], v[40:41], 2.0, -v[62:63]
	v_lshl_add_u32 v46, v112, 4, 0
	v_lshl_add_u32 v45, v100, 4, 0
	;; [unrolled: 1-line block ×5, first 2 shown]
	ds_read_b128 v[72:75], v47
	ds_read_b128 v[76:79], v46
	ds_read_b128 v[80:83], v45
	ds_read_b128 v[131:134], v44
	ds_read_b128 v[135:138], v125
	ds_read_b128 v[139:142], v86
	ds_read_b128 v[143:146], v43
	ds_read_b128 v[147:150], v42
	ds_read_b128 v[151:154], v41
	ds_read_b128 v[155:158], v40
	s_waitcnt lgkmcnt(0)
	s_barrier
	ds_write_b128 v122, v[64:67]
	ds_write_b128 v122, v[30:33] offset:5760
	ds_write_b128 v129, v[26:29]
	ds_write_b128 v129, v[48:51] offset:5760
	;; [unrolled: 2-line block ×3, first 2 shown]
	v_mov_b32_e32 v28, 0x2d00
	v_cndmask_b32_e32 v28, 0, v28, vcc
	v_add_f64 v[26:27], v[56:57], -v[159:160]
	v_add3_u32 v0, 0, v28, v0
	v_add_f64 v[28:29], v[58:59], -v[161:162]
	v_add_f64 v[34:35], v[135:136], -v[163:164]
	;; [unrolled: 1-line block ×3, first 2 shown]
	v_fma_f64 v[68:69], v[38:39], 2.0, -v[60:61]
	v_add_f64 v[48:49], v[72:73], -v[167:168]
	v_add_f64 v[50:51], v[74:75], -v[169:170]
	v_fma_f64 v[30:31], v[56:57], 2.0, -v[26:27]
	v_add_f64 v[52:53], v[76:77], -v[171:172]
	v_fma_f64 v[32:33], v[58:59], 2.0, -v[28:29]
	;; [unrolled: 2-line block ×3, first 2 shown]
	v_fma_f64 v[58:59], v[137:138], 2.0, -v[36:37]
	ds_write_b128 v0, v[68:71]
	ds_write_b128 v0, v[60:63] offset:5760
	v_fma_f64 v[60:61], v[72:73], 2.0, -v[48:49]
	v_fma_f64 v[62:63], v[74:75], 2.0, -v[50:51]
	ds_write_b128 v122, v[30:33] offset:11904
	ds_write_b128 v122, v[26:29] offset:17664
	v_add_f64 v[26:27], v[80:81], -v[175:176]
	v_add_f64 v[28:29], v[82:83], -v[177:178]
	v_fma_f64 v[64:65], v[76:77], 2.0, -v[52:53]
	v_fma_f64 v[66:67], v[78:79], 2.0, -v[54:55]
	ds_write_b128 v122, v[56:59] offset:13440
	ds_write_b128 v122, v[34:37] offset:19200
	v_add_f64 v[34:35], v[131:132], -v[179:180]
	v_add_f64 v[36:37], v[133:134], -v[181:182]
	ds_write_b128 v122, v[60:63] offset:14976
	ds_write_b128 v122, v[48:51] offset:20736
	v_fma_f64 v[30:31], v[80:81], 2.0, -v[26:27]
	v_fma_f64 v[32:33], v[82:83], 2.0, -v[28:29]
	v_add_f64 v[48:49], v[139:140], -v[183:184]
	v_add_f64 v[50:51], v[141:142], -v[185:186]
	v_mul_u32_u24_e32 v0, 0x2d00, v17
	v_add3_u32 v0, 0, v0, v18
	ds_write_b128 v0, v[64:67]
	ds_write_b128 v0, v[52:55] offset:5760
	v_add_u32_e32 v0, 0, v16
	v_fma_f64 v[52:53], v[131:132], 2.0, -v[34:35]
	v_fma_f64 v[54:55], v[133:134], 2.0, -v[36:37]
	ds_write_b128 v0, v[30:33] offset:23040
	v_fma_f64 v[30:31], v[139:140], 2.0, -v[48:49]
	v_fma_f64 v[32:33], v[141:142], 2.0, -v[50:51]
	ds_write_b128 v0, v[26:29] offset:28800
	v_add_f64 v[26:27], v[143:144], -v[187:188]
	v_add_f64 v[28:29], v[145:146], -v[84:85]
	v_add_u32_e32 v0, 0, v19
	ds_write_b128 v0, v[52:55] offset:23040
	ds_write_b128 v0, v[34:37] offset:28800
	v_add_u32_e32 v0, 0, v20
	ds_write_b128 v0, v[30:33] offset:23040
	ds_write_b128 v0, v[48:51] offset:28800
	v_add_f64 v[30:31], v[147:148], -v[189:190]
	v_add_f64 v[32:33], v[149:150], -v[191:192]
	v_fma_f64 v[16:17], v[143:144], 2.0, -v[26:27]
	v_fma_f64 v[18:19], v[145:146], 2.0, -v[28:29]
	v_add_f64 v[34:35], v[151:152], -v[193:194]
	v_add_f64 v[36:37], v[153:154], -v[195:196]
	;; [unrolled: 1-line block ×4, first 2 shown]
	v_mul_u32_u24_e32 v0, 0x2d00, v23
	v_add3_u32 v0, 0, v0, v21
	v_fma_f64 v[52:53], v[147:148], 2.0, -v[30:31]
	v_fma_f64 v[54:55], v[149:150], 2.0, -v[32:33]
	ds_write_b128 v0, v[16:19]
	v_fma_f64 v[16:17], v[151:152], 2.0, -v[34:35]
	v_fma_f64 v[18:19], v[153:154], 2.0, -v[36:37]
	ds_write_b128 v0, v[26:29] offset:5760
	v_fma_f64 v[26:27], v[155:156], 2.0, -v[48:49]
	v_fma_f64 v[28:29], v[157:158], 2.0, -v[50:51]
	v_add_u32_e32 v0, 0, v22
	ds_write_b128 v0, v[52:55] offset:34560
	ds_write_b128 v0, v[30:33] offset:40320
	v_add_u32_e32 v0, 0, v24
	ds_write_b128 v0, v[16:19] offset:34560
	ds_write_b128 v0, v[34:37] offset:40320
	v_add_u32_e32 v0, 0, v25
	v_add_co_u32_e32 v16, vcc, s4, v9
	ds_write_b128 v0, v[26:29] offset:34560
	ds_write_b128 v0, v[48:51] offset:40320
	s_waitcnt lgkmcnt(0)
	s_barrier
	global_load_dwordx4 v[32:35], v[2:3], off offset:3168
	v_addc_co_u32_e32 v17, vcc, 0, v8, vcc
	v_add_co_u32_e32 v18, vcc, s4, v10
	v_lshlrev_b64 v[22:23], 4, v[120:121]
	v_addc_co_u32_e32 v19, vcc, 0, v11, vcc
	v_add_co_u32_e32 v30, vcc, s12, v22
	v_addc_co_u32_e32 v31, vcc, v130, v23, vcc
	global_load_dwordx4 v[36:39], v[16:17], off offset:3168
	global_load_dwordx4 v[48:51], v[18:19], off offset:3168
	v_add_co_u32_e32 v16, vcc, s4, v30
	v_lshlrev_b64 v[20:21], 4, v[114:115]
	v_addc_co_u32_e32 v17, vcc, 0, v31, vcc
	v_add_co_u32_e32 v26, vcc, s12, v20
	v_addc_co_u32_e32 v27, vcc, v130, v21, vcc
	v_add_co_u32_e32 v18, vcc, s4, v26
	v_addc_co_u32_e32 v19, vcc, 0, v27, vcc
	global_load_dwordx4 v[52:55], v[16:17], off offset:3168
	global_load_dwordx4 v[56:59], v[18:19], off offset:3168
	v_lshlrev_b64 v[18:19], 4, v[118:119]
	v_lshlrev_b64 v[16:17], 4, v[116:117]
	v_add_co_u32_e32 v28, vcc, s12, v18
	v_addc_co_u32_e32 v29, vcc, v130, v19, vcc
	v_add_co_u32_e32 v68, vcc, s4, v28
	v_addc_co_u32_e32 v69, vcc, 0, v29, vcc
	;; [unrolled: 2-line block ×4, first 2 shown]
	v_subrev_u32_e32 v0, 48, v88
	v_cmp_gt_u32_e32 vcc, 48, v88
	global_load_dwordx4 v[60:63], v[68:69], off offset:3168
	global_load_dwordx4 v[64:67], v[70:71], off offset:3168
	v_cndmask_b32_e32 v0, v0, v112, vcc
	v_lshlrev_b64 v[68:69], 4, v[0:1]
	v_lshlrev_b32_e32 v0, 4, v0
	v_add_co_u32_e32 v68, vcc, s12, v68
	v_addc_co_u32_e32 v69, vcc, v130, v69, vcc
	v_add_co_u32_e32 v80, vcc, s4, v68
	v_addc_co_u32_e32 v81, vcc, 0, v69, vcc
	global_load_dwordx4 v[68:71], v[2:3], off offset:3936
	v_add_co_u32_e32 v2, vcc, s5, v6
	v_addc_co_u32_e32 v3, vcc, 0, v7, vcc
	global_load_dwordx4 v[72:75], v[80:81], off offset:3168
	global_load_dwordx4 v[76:79], v[2:3], off offset:1376
	v_add_u32_e32 v80, 0x150, v88
	v_mov_b32_e32 v81, v1
	v_lshlrev_b64 v[80:81], 4, v[80:81]
	v_add_co_u32_e32 v80, vcc, s12, v80
	v_addc_co_u32_e32 v81, vcc, v130, v81, vcc
	v_add_co_u32_e32 v84, vcc, s4, v80
	v_addc_co_u32_e32 v85, vcc, 0, v81, vcc
	global_load_dwordx4 v[80:83], v[2:3], off offset:2912
	global_load_dwordx4 v[114:117], v[84:85], off offset:3168
	v_add_u32_e32 v2, 0x1b0, v88
	v_mov_b32_e32 v3, v1
	v_lshlrev_b64 v[2:3], 4, v[2:3]
	v_add_u32_e32 v84, 0x210, v88
	v_add_co_u32_e32 v2, vcc, s12, v2
	v_addc_co_u32_e32 v3, vcc, v130, v3, vcc
	v_mov_b32_e32 v85, v1
	v_add_co_u32_e32 v2, vcc, s4, v2
	v_lshlrev_b64 v[84:85], 4, v[84:85]
	v_addc_co_u32_e32 v3, vcc, 0, v3, vcc
	v_add_co_u32_e32 v84, vcc, s12, v84
	v_addc_co_u32_e32 v85, vcc, v130, v85, vcc
	v_add_co_u32_e32 v84, vcc, s4, v84
	v_addc_co_u32_e32 v85, vcc, 0, v85, vcc
	global_load_dwordx4 v[118:121], v[2:3], off offset:3168
	global_load_dwordx4 v[131:134], v[84:85], off offset:3168
	v_add_u32_e32 v2, 0x270, v88
	v_mov_b32_e32 v3, v1
	v_lshlrev_b64 v[1:2], 4, v[2:3]
	v_add_co_u32_e32 v1, vcc, s12, v1
	v_addc_co_u32_e32 v2, vcc, v130, v2, vcc
	v_add_co_u32_e32 v1, vcc, s4, v1
	v_addc_co_u32_e32 v2, vcc, 0, v2, vcc
	global_load_dwordx4 v[135:138], v[1:2], off offset:3168
	ds_read_b128 v[139:142], v122 offset:23040
	ds_read_b128 v[143:146], v122
	ds_read_b128 v[147:150], v122 offset:24576
	ds_read_b128 v[151:154], v122 offset:26112
	ds_read_b128 v[155:158], v122 offset:27648
	s_waitcnt vmcnt(14) lgkmcnt(4)
	v_mul_f64 v[1:2], v[141:142], v[34:35]
	v_mul_f64 v[34:35], v[139:140], v[34:35]
	s_waitcnt vmcnt(13) lgkmcnt(2)
	v_mul_f64 v[84:85], v[149:150], v[38:39]
	v_mul_f64 v[38:39], v[147:148], v[38:39]
	v_cmp_lt_u32_e32 vcc, 47, v88
	s_movk_i32 s4, 0x5000
	v_fma_f64 v[1:2], v[139:140], v[32:33], -v[1:2]
	s_waitcnt vmcnt(12) lgkmcnt(1)
	v_mul_f64 v[139:140], v[153:154], v[50:51]
	v_mul_f64 v[50:51], v[151:152], v[50:51]
	v_fma_f64 v[141:142], v[141:142], v[32:33], v[34:35]
	ds_read_b128 v[32:35], v122 offset:29184
	v_fma_f64 v[84:85], v[147:148], v[36:37], -v[84:85]
	v_fma_f64 v[147:148], v[149:150], v[36:37], v[38:39]
	s_waitcnt vmcnt(11) lgkmcnt(1)
	v_mul_f64 v[149:150], v[157:158], v[54:55]
	v_mul_f64 v[54:55], v[155:156], v[54:55]
	v_fma_f64 v[139:140], v[151:152], v[48:49], -v[139:140]
	v_fma_f64 v[151:152], v[153:154], v[48:49], v[50:51]
	ds_read_b128 v[36:39], v122 offset:30720
	ds_read_b128 v[48:51], v122 offset:32256
	s_waitcnt vmcnt(10) lgkmcnt(2)
	v_mul_f64 v[153:154], v[34:35], v[58:59]
	v_mul_f64 v[58:59], v[32:33], v[58:59]
	v_fma_f64 v[149:150], v[155:156], v[52:53], -v[149:150]
	s_waitcnt vmcnt(9) lgkmcnt(1)
	v_mul_f64 v[155:156], v[38:39], v[62:63]
	v_mul_f64 v[62:63], v[36:37], v[62:63]
	s_waitcnt vmcnt(8) lgkmcnt(0)
	v_mul_f64 v[159:160], v[50:51], v[66:67]
	v_fma_f64 v[157:158], v[157:158], v[52:53], v[54:55]
	v_mul_f64 v[52:53], v[48:49], v[66:67]
	v_fma_f64 v[153:154], v[32:33], v[56:57], -v[153:154]
	v_fma_f64 v[161:162], v[34:35], v[56:57], v[58:59]
	ds_read_b128 v[32:35], v122 offset:33792
	v_fma_f64 v[155:156], v[36:37], v[60:61], -v[155:156]
	v_fma_f64 v[163:164], v[38:39], v[60:61], v[62:63]
	ds_read_b128 v[36:39], v122 offset:35328
	v_fma_f64 v[159:160], v[48:49], v[64:65], -v[159:160]
	s_waitcnt vmcnt(6) lgkmcnt(1)
	v_mul_f64 v[56:57], v[34:35], v[74:75]
	v_fma_f64 v[165:166], v[50:51], v[64:65], v[52:53]
	ds_read_b128 v[48:51], v122 offset:36864
	ds_read_b128 v[52:55], v122 offset:38400
	v_mul_f64 v[58:59], v[32:33], v[74:75]
	s_waitcnt lgkmcnt(2)
	v_mul_f64 v[60:61], v[38:39], v[70:71]
	v_mul_f64 v[62:63], v[36:37], v[70:71]
	s_waitcnt vmcnt(5) lgkmcnt(1)
	v_mul_f64 v[64:65], v[50:51], v[78:79]
	v_fma_f64 v[167:168], v[32:33], v[72:73], -v[56:57]
	v_mul_f64 v[56:57], v[48:49], v[78:79]
	s_waitcnt vmcnt(4) lgkmcnt(0)
	v_mul_f64 v[66:67], v[54:55], v[82:83]
	v_mul_f64 v[70:71], v[52:53], v[82:83]
	v_fma_f64 v[169:170], v[34:35], v[72:73], v[58:59]
	ds_read_b128 v[32:35], v122 offset:39936
	v_fma_f64 v[171:172], v[36:37], v[68:69], -v[60:61]
	v_fma_f64 v[173:174], v[38:39], v[68:69], v[62:63]
	ds_read_b128 v[36:39], v122 offset:41472
	v_fma_f64 v[177:178], v[50:51], v[76:77], v[56:57]
	s_waitcnt vmcnt(3) lgkmcnt(1)
	v_mul_f64 v[56:57], v[34:35], v[116:117]
	v_fma_f64 v[175:176], v[48:49], v[76:77], -v[64:65]
	ds_read_b128 v[48:51], v122 offset:43008
	v_fma_f64 v[179:180], v[52:53], v[80:81], -v[66:67]
	v_fma_f64 v[181:182], v[54:55], v[80:81], v[70:71]
	ds_read_b128 v[52:55], v122 offset:44544
	v_mul_f64 v[58:59], v[32:33], v[116:117]
	s_waitcnt vmcnt(2) lgkmcnt(2)
	v_mul_f64 v[60:61], v[38:39], v[120:121]
	s_waitcnt vmcnt(1) lgkmcnt(1)
	v_mul_f64 v[64:65], v[50:51], v[133:134]
	v_mul_f64 v[66:67], v[48:49], v[133:134]
	;; [unrolled: 1-line block ×3, first 2 shown]
	v_fma_f64 v[183:184], v[32:33], v[114:115], -v[56:57]
	ds_read_b128 v[80:83], v125
	v_fma_f64 v[185:186], v[34:35], v[114:115], v[58:59]
	ds_read_b128 v[32:35], v129
	v_fma_f64 v[191:192], v[48:49], v[131:132], -v[64:65]
	v_fma_f64 v[193:194], v[50:51], v[131:132], v[66:67]
	ds_read_b128 v[48:51], v128
	v_fma_f64 v[187:188], v[36:37], v[118:119], -v[60:61]
	v_fma_f64 v[189:190], v[38:39], v[118:119], v[62:63]
	s_waitcnt vmcnt(0) lgkmcnt(3)
	v_mul_f64 v[56:57], v[52:53], v[137:138]
	v_mul_f64 v[68:69], v[54:55], v[137:138]
	v_add_f64 v[36:37], v[143:144], -v[1:2]
	v_add_f64 v[38:39], v[145:146], -v[141:142]
	ds_read_b128 v[64:67], v126
	s_waitcnt lgkmcnt(3)
	v_add_f64 v[137:138], v[82:83], -v[163:164]
	v_mov_b32_e32 v1, 0x5a00
	v_cndmask_b32_e32 v1, 0, v1, vcc
	v_fma_f64 v[197:198], v[54:55], v[135:136], v[56:57]
	ds_read_b128 v[56:59], v127
	v_fma_f64 v[195:196], v[52:53], v[135:136], -v[68:69]
	s_waitcnt lgkmcnt(3)
	v_add_f64 v[52:53], v[32:33], -v[84:85]
	v_add_f64 v[54:55], v[34:35], -v[147:148]
	s_waitcnt lgkmcnt(2)
	v_add_f64 v[60:61], v[48:49], -v[139:140]
	v_add_f64 v[62:63], v[50:51], -v[151:152]
	ds_read_b128 v[114:117], v47
	ds_read_b128 v[118:121], v46
	;; [unrolled: 1-line block ×3, first 2 shown]
	s_waitcnt lgkmcnt(3)
	v_add_f64 v[68:69], v[56:57], -v[149:150]
	v_add_f64 v[70:71], v[58:59], -v[157:158]
	v_fma_f64 v[72:73], v[143:144], 2.0, -v[36:37]
	v_fma_f64 v[74:75], v[145:146], 2.0, -v[38:39]
	v_add_f64 v[76:77], v[64:65], -v[153:154]
	v_add_f64 v[78:79], v[66:67], -v[161:162]
	;; [unrolled: 1-line block ×3, first 2 shown]
	s_waitcnt lgkmcnt(2)
	v_add_f64 v[139:140], v[114:115], -v[159:160]
	v_add_f64 v[141:142], v[116:117], -v[165:166]
	s_waitcnt lgkmcnt(1)
	v_add_f64 v[143:144], v[118:119], -v[167:168]
	v_add_f64 v[145:146], v[120:121], -v[169:170]
	v_fma_f64 v[32:33], v[32:33], 2.0, -v[52:53]
	v_fma_f64 v[34:35], v[34:35], 2.0, -v[54:55]
	;; [unrolled: 1-line block ×14, first 2 shown]
	ds_read_b128 v[147:150], v45
	ds_read_b128 v[151:154], v44
	ds_read_b128 v[155:158], v43
	ds_read_b128 v[159:162], v42
	ds_read_b128 v[163:166], v41
	ds_read_b128 v[167:170], v40
	s_waitcnt lgkmcnt(0)
	s_barrier
	ds_write_b128 v122, v[72:75]
	ds_write_b128 v122, v[36:39] offset:11520
	ds_write_b128 v129, v[32:35]
	ds_write_b128 v129, v[52:55] offset:11520
	;; [unrolled: 2-line block ×7, first 2 shown]
	v_add3_u32 v48, 0, v1, v0
	v_add_f64 v[0:1], v[147:148], -v[171:172]
	v_add_f64 v[2:3], v[149:150], -v[173:174]
	;; [unrolled: 1-line block ×8, first 2 shown]
	ds_write_b128 v48, v[118:121]
	ds_write_b128 v48, v[143:146] offset:11520
	v_fma_f64 v[48:49], v[147:148], 2.0, -v[0:1]
	v_fma_f64 v[50:51], v[149:150], 2.0, -v[2:3]
	v_add_f64 v[64:65], v[159:160], -v[187:188]
	v_add_f64 v[66:67], v[161:162], -v[189:190]
	;; [unrolled: 1-line block ×6, first 2 shown]
	v_fma_f64 v[52:53], v[151:152], 2.0, -v[32:33]
	v_fma_f64 v[54:55], v[153:154], 2.0, -v[34:35]
	v_fma_f64 v[56:57], v[131:132], 2.0, -v[36:37]
	v_fma_f64 v[58:59], v[133:134], 2.0, -v[38:39]
	v_fma_f64 v[76:77], v[155:156], 2.0, -v[60:61]
	v_fma_f64 v[78:79], v[157:158], 2.0, -v[62:63]
	v_fma_f64 v[80:81], v[159:160], 2.0, -v[64:65]
	v_fma_f64 v[82:83], v[161:162], 2.0, -v[66:67]
	v_fma_f64 v[114:115], v[163:164], 2.0, -v[68:69]
	v_fma_f64 v[116:117], v[165:166], 2.0, -v[70:71]
	v_fma_f64 v[118:119], v[167:168], 2.0, -v[72:73]
	v_fma_f64 v[120:121], v[169:170], 2.0, -v[74:75]
	ds_write_b128 v122, v[48:51] offset:23808
	ds_write_b128 v122, v[0:3] offset:35328
	;; [unrolled: 1-line block ×14, first 2 shown]
	v_add_co_u32_e32 v0, vcc, s4, v6
	v_addc_co_u32_e32 v1, vcc, 0, v7, vcc
	v_add_co_u32_e32 v6, vcc, s4, v9
	v_addc_co_u32_e32 v7, vcc, 0, v8, vcc
	s_waitcnt lgkmcnt(0)
	s_barrier
	global_load_dwordx4 v[0:3], v[0:1], off offset:2400
	s_nop 0
	global_load_dwordx4 v[6:9], v[6:7], off offset:2400
	v_add_co_u32_e32 v10, vcc, s4, v10
	v_addc_co_u32_e32 v11, vcc, 0, v11, vcc
	v_add_co_u32_e32 v30, vcc, s4, v30
	v_addc_co_u32_e32 v31, vcc, 0, v31, vcc
	global_load_dwordx4 v[48:51], v[10:11], off offset:2400
	global_load_dwordx4 v[52:55], v[30:31], off offset:2400
	v_add_co_u32_e32 v10, vcc, s4, v26
	v_addc_co_u32_e32 v11, vcc, 0, v27, vcc
	v_add_co_u32_e32 v26, vcc, s4, v28
	v_addc_co_u32_e32 v27, vcc, 0, v29, vcc
	global_load_dwordx4 v[56:59], v[10:11], off offset:2400
	global_load_dwordx4 v[60:63], v[26:27], off offset:2400
	v_add_co_u32_e32 v10, vcc, s4, v24
	v_lshlrev_b64 v[38:39], 4, v[112:113]
	v_addc_co_u32_e32 v11, vcc, 0, v25, vcc
	v_add_co_u32_e32 v24, vcc, s12, v38
	v_addc_co_u32_e32 v25, vcc, v130, v39, vcc
	v_add_co_u32_e32 v24, vcc, s4, v24
	v_lshlrev_b64 v[36:37], 4, v[100:101]
	v_addc_co_u32_e32 v25, vcc, 0, v25, vcc
	global_load_dwordx4 v[64:67], v[10:11], off offset:2400
	global_load_dwordx4 v[68:71], v[24:25], off offset:2400
	v_add_co_u32_e32 v10, vcc, s12, v36
	v_addc_co_u32_e32 v11, vcc, v130, v37, vcc
	v_add_co_u32_e32 v10, vcc, s4, v10
	v_lshlrev_b64 v[34:35], 4, v[110:111]
	v_addc_co_u32_e32 v11, vcc, 0, v11, vcc
	v_add_co_u32_e32 v24, vcc, s12, v34
	v_addc_co_u32_e32 v25, vcc, v130, v35, vcc
	v_add_co_u32_e32 v24, vcc, s4, v24
	v_addc_co_u32_e32 v25, vcc, 0, v25, vcc
	global_load_dwordx4 v[72:75], v[10:11], off offset:2400
	global_load_dwordx4 v[76:79], v[24:25], off offset:2400
	v_lshlrev_b64 v[32:33], 4, v[108:109]
	v_lshlrev_b64 v[30:31], 4, v[106:107]
	v_add_co_u32_e32 v10, vcc, s12, v32
	v_addc_co_u32_e32 v11, vcc, v130, v33, vcc
	v_add_co_u32_e32 v10, vcc, s4, v10
	v_addc_co_u32_e32 v11, vcc, 0, v11, vcc
	;; [unrolled: 2-line block ×3, first 2 shown]
	v_add_co_u32_e32 v24, vcc, s4, v24
	v_lshlrev_b64 v[28:29], 4, v[98:99]
	v_addc_co_u32_e32 v25, vcc, 0, v25, vcc
	global_load_dwordx4 v[80:83], v[10:11], off offset:2400
	global_load_dwordx4 v[106:109], v[24:25], off offset:2400
	v_add_co_u32_e32 v10, vcc, s12, v28
	v_addc_co_u32_e32 v11, vcc, v130, v29, vcc
	v_add_co_u32_e32 v10, vcc, s4, v10
	v_addc_co_u32_e32 v11, vcc, 0, v11, vcc
	global_load_dwordx4 v[97:100], v[10:11], off offset:2400
	v_lshlrev_b64 v[26:27], 4, v[102:103]
	v_lshlrev_b64 v[24:25], 4, v[104:105]
	v_add_co_u32_e32 v10, vcc, s12, v26
	v_addc_co_u32_e32 v11, vcc, v130, v27, vcc
	v_add_co_u32_e32 v10, vcc, s4, v10
	v_addc_co_u32_e32 v11, vcc, 0, v11, vcc
	global_load_dwordx4 v[110:113], v[10:11], off offset:2400
	v_add_co_u32_e32 v10, vcc, s12, v24
	v_addc_co_u32_e32 v11, vcc, v130, v25, vcc
	v_add_co_u32_e32 v10, vcc, s4, v10
	v_addc_co_u32_e32 v11, vcc, 0, v11, vcc
	global_load_dwordx4 v[101:104], v[10:11], off offset:2400
	ds_read_b128 v[114:117], v122 offset:23040
	ds_read_b128 v[118:121], v122
	ds_read_b128 v[130:133], v122 offset:24576
	ds_read_b128 v[134:137], v122 offset:26112
	v_cmp_ne_u32_e32 vcc, 0, v88
	s_waitcnt vmcnt(14) lgkmcnt(3)
	v_mul_f64 v[84:85], v[116:117], v[2:3]
	v_mul_f64 v[2:3], v[114:115], v[2:3]
	s_waitcnt vmcnt(13) lgkmcnt(1)
	v_mul_f64 v[138:139], v[132:133], v[8:9]
	v_mul_f64 v[140:141], v[130:131], v[8:9]
	ds_read_b128 v[8:11], v122 offset:27648
	s_waitcnt vmcnt(12) lgkmcnt(1)
	v_mul_f64 v[142:143], v[136:137], v[50:51]
	v_mul_f64 v[50:51], v[134:135], v[50:51]
	v_fma_f64 v[84:85], v[114:115], v[0:1], -v[84:85]
	v_fma_f64 v[144:145], v[116:117], v[0:1], v[2:3]
	ds_read_b128 v[0:3], v122 offset:29184
	s_waitcnt vmcnt(11) lgkmcnt(1)
	v_mul_f64 v[114:115], v[10:11], v[54:55]
	v_mul_f64 v[54:55], v[8:9], v[54:55]
	v_fma_f64 v[134:135], v[134:135], v[48:49], -v[142:143]
	v_fma_f64 v[136:137], v[136:137], v[48:49], v[50:51]
	;; [unrolled: 6-line block ×3, first 2 shown]
	v_fma_f64 v[138:139], v[8:9], v[52:53], -v[114:115]
	v_fma_f64 v[10:11], v[10:11], v[52:53], v[54:55]
	ds_read_b128 v[6:9], v122 offset:32256
	s_waitcnt vmcnt(9) lgkmcnt(1)
	v_mul_f64 v[140:141], v[50:51], v[62:63]
	v_fma_f64 v[142:143], v[0:1], v[56:57], -v[116:117]
	v_mul_f64 v[0:1], v[48:49], v[62:63]
	ds_read_b128 v[52:55], v122 offset:33792
	ds_read_b128 v[114:117], v122 offset:35328
	s_waitcnt vmcnt(8) lgkmcnt(2)
	v_mul_f64 v[62:63], v[8:9], v[66:67]
	v_mul_f64 v[66:67], v[6:7], v[66:67]
	v_fma_f64 v[146:147], v[2:3], v[56:57], v[58:59]
	s_waitcnt vmcnt(7) lgkmcnt(1)
	v_mul_f64 v[56:57], v[52:53], v[70:71]
	s_waitcnt vmcnt(6) lgkmcnt(0)
	v_mul_f64 v[58:59], v[116:117], v[74:75]
	v_fma_f64 v[140:141], v[48:49], v[60:61], -v[140:141]
	v_mul_f64 v[48:49], v[54:55], v[70:71]
	v_fma_f64 v[148:149], v[50:51], v[60:61], v[0:1]
	ds_read_b128 v[0:3], v122 offset:36864
	v_fma_f64 v[150:151], v[6:7], v[64:65], -v[62:63]
	v_fma_f64 v[152:153], v[8:9], v[64:65], v[66:67]
	ds_read_b128 v[6:9], v122 offset:38400
	v_mul_f64 v[60:61], v[114:115], v[74:75]
	v_fma_f64 v[156:157], v[54:55], v[68:69], v[56:57]
	s_waitcnt vmcnt(5) lgkmcnt(1)
	v_mul_f64 v[56:57], v[2:3], v[78:79]
	v_fma_f64 v[158:159], v[114:115], v[72:73], -v[58:59]
	v_mul_f64 v[58:59], v[0:1], v[78:79]
	v_fma_f64 v[154:155], v[52:53], v[68:69], -v[48:49]
	ds_read_b128 v[48:51], v122 offset:39936
	ds_read_b128 v[52:55], v122 offset:41472
	v_fma_f64 v[160:161], v[116:117], v[72:73], v[60:61]
	s_waitcnt vmcnt(4) lgkmcnt(2)
	v_mul_f64 v[60:61], v[8:9], v[82:83]
	v_mul_f64 v[62:63], v[6:7], v[82:83]
	s_waitcnt vmcnt(3) lgkmcnt(1)
	v_mul_f64 v[64:65], v[50:51], v[108:109]
	v_fma_f64 v[162:163], v[0:1], v[76:77], -v[56:57]
	v_mul_f64 v[56:57], v[48:49], v[108:109]
	v_fma_f64 v[164:165], v[2:3], v[76:77], v[58:59]
	ds_read_b128 v[0:3], v122 offset:43008
	s_waitcnt vmcnt(2) lgkmcnt(1)
	v_mul_f64 v[58:59], v[54:55], v[99:100]
	v_mul_f64 v[66:67], v[52:53], v[99:100]
	v_fma_f64 v[166:167], v[6:7], v[80:81], -v[60:61]
	v_fma_f64 v[168:169], v[8:9], v[80:81], v[62:63]
	ds_read_b128 v[6:9], v122 offset:44544
	v_fma_f64 v[170:171], v[48:49], v[106:107], -v[64:65]
	v_fma_f64 v[172:173], v[50:51], v[106:107], v[56:57]
	ds_read_b128 v[48:51], v129
	v_fma_f64 v[174:175], v[52:53], v[97:98], -v[58:59]
	ds_read_b128 v[56:59], v128
	v_fma_f64 v[176:177], v[54:55], v[97:98], v[66:67]
	s_waitcnt vmcnt(1) lgkmcnt(3)
	v_mul_f64 v[64:65], v[2:3], v[112:113]
	v_mul_f64 v[66:67], v[0:1], v[112:113]
	v_add_f64 v[52:53], v[118:119], -v[84:85]
	v_add_f64 v[54:55], v[120:121], -v[144:145]
	s_waitcnt lgkmcnt(1)
	v_add_f64 v[60:61], v[48:49], -v[130:131]
	v_add_f64 v[62:63], v[50:51], -v[132:133]
	s_waitcnt lgkmcnt(0)
	v_add_f64 v[97:98], v[56:57], -v[134:135]
	v_add_f64 v[99:100], v[58:59], -v[136:137]
	v_fma_f64 v[84:85], v[0:1], v[110:111], -v[64:65]
	s_waitcnt vmcnt(0)
	v_mul_f64 v[68:69], v[8:9], v[103:104]
	v_mul_f64 v[70:71], v[6:7], v[103:104]
	v_fma_f64 v[178:179], v[2:3], v[110:111], v[66:67]
	v_fma_f64 v[0:1], v[118:119], 2.0, -v[52:53]
	v_fma_f64 v[2:3], v[120:121], 2.0, -v[54:55]
	;; [unrolled: 1-line block ×4, first 2 shown]
	v_fma_f64 v[180:181], v[6:7], v[101:102], -v[68:69]
	v_fma_f64 v[182:183], v[8:9], v[101:102], v[70:71]
	v_fma_f64 v[6:7], v[48:49], 2.0, -v[60:61]
	v_fma_f64 v[8:9], v[50:51], 2.0, -v[62:63]
	ds_read_b128 v[48:51], v127
	ds_read_b128 v[64:67], v126
	;; [unrolled: 1-line block ×12, first 2 shown]
	s_waitcnt lgkmcnt(0)
	s_barrier
	ds_write_b128 v122, v[0:3]
	ds_write_b128 v122, v[52:55] offset:23040
	ds_write_b128 v129, v[6:9]
	ds_write_b128 v129, v[60:63] offset:23040
	;; [unrolled: 2-line block ×3, first 2 shown]
	v_add_f64 v[0:1], v[48:49], -v[138:139]
	v_add_f64 v[2:3], v[50:51], -v[10:11]
	;; [unrolled: 1-line block ×8, first 2 shown]
	v_fma_f64 v[48:49], v[48:49], 2.0, -v[0:1]
	v_fma_f64 v[50:51], v[50:51], 2.0, -v[2:3]
	;; [unrolled: 1-line block ×6, first 2 shown]
	v_add_f64 v[97:98], v[72:73], -v[154:155]
	v_add_f64 v[99:100], v[74:75], -v[156:157]
	;; [unrolled: 1-line block ×16, first 2 shown]
	v_fma_f64 v[68:69], v[68:69], 2.0, -v[56:57]
	v_fma_f64 v[70:71], v[70:71], 2.0, -v[58:59]
	;; [unrolled: 1-line block ×18, first 2 shown]
	ds_write_b128 v127, v[48:51]
	ds_write_b128 v127, v[0:3] offset:23040
	ds_write_b128 v126, v[60:63]
	ds_write_b128 v126, v[6:9] offset:23040
	ds_write_b128 v125, v[64:67]
	ds_write_b128 v125, v[52:55] offset:23040
	ds_write_b128 v47, v[68:71]
	ds_write_b128 v47, v[56:59] offset:23040
	ds_write_b128 v46, v[72:75]
	ds_write_b128 v46, v[97:100] offset:23040
	ds_write_b128 v45, v[76:79]
	ds_write_b128 v45, v[101:104] offset:23040
	ds_write_b128 v44, v[80:83]
	ds_write_b128 v44, v[134:137] offset:23040
	ds_write_b128 v86, v[105:108]
	ds_write_b128 v86, v[138:141] offset:23040
	ds_write_b128 v43, v[109:112]
	ds_write_b128 v43, v[142:145] offset:23040
	ds_write_b128 v42, v[113:116]
	ds_write_b128 v42, v[146:149] offset:23040
	ds_write_b128 v41, v[117:120]
	ds_write_b128 v41, v[150:153] offset:23040
	ds_write_b128 v40, v[128:131]
	ds_write_b128 v40, v[154:157] offset:23040
	s_waitcnt lgkmcnt(0)
	s_barrier
	ds_read_b128 v[8:11], v122
	v_sub_u32_e32 v48, 0, v123
                                        ; implicit-def: $vgpr2_vgpr3
                                        ; implicit-def: $vgpr6_vgpr7
	s_and_saveexec_b64 s[4:5], vcc
	s_xor_b64 s[4:5], exec, s[4:5]
	s_cbranch_execz .LBB0_15
; %bb.14:
	v_mov_b32_e32 v1, s7
	v_add_co_u32_e32 v0, vcc, s6, v4
	v_addc_co_u32_e32 v1, vcc, v1, v5, vcc
	global_load_dwordx4 v[2:5], v[0:1], off
	ds_read_b128 v[49:52], v48 offset:46080
	s_waitcnt lgkmcnt(0)
	v_add_f64 v[0:1], v[8:9], -v[49:50]
	v_add_f64 v[6:7], v[10:11], v[51:52]
	v_add_f64 v[10:11], v[10:11], -v[51:52]
	v_mul_f64 v[51:52], v[0:1], 0.5
	v_add_f64 v[0:1], v[8:9], v[49:50]
	v_mul_f64 v[8:9], v[6:7], 0.5
	v_mul_f64 v[6:7], v[10:11], 0.5
	s_waitcnt vmcnt(0)
	v_mul_f64 v[10:11], v[51:52], v[4:5]
	v_fma_f64 v[49:50], v[8:9], v[4:5], v[6:7]
	v_fma_f64 v[53:54], v[0:1], 0.5, v[10:11]
	v_fma_f64 v[0:1], v[0:1], 0.5, -v[10:11]
	v_fma_f64 v[10:11], v[8:9], v[4:5], -v[6:7]
	v_fma_f64 v[6:7], -v[2:3], v[51:52], v[49:50]
	v_fma_f64 v[4:5], v[8:9], v[2:3], v[53:54]
	v_fma_f64 v[0:1], -v[8:9], v[2:3], v[0:1]
	v_fma_f64 v[2:3], -v[2:3], v[51:52], v[10:11]
                                        ; implicit-def: $vgpr8_vgpr9
.LBB0_15:
	s_or_saveexec_b64 s[4:5], s[4:5]
	v_mul_i32_i24_e32 v50, 0xffffff70, v96
	v_mul_i32_i24_e32 v49, 0xffffff70, v94
	s_xor_b64 exec, exec, s[4:5]
	s_cbranch_execz .LBB0_17
; %bb.16:
	s_waitcnt lgkmcnt(0)
	v_add_f64 v[4:5], v[8:9], v[10:11]
	v_add_f64 v[0:1], v[8:9], -v[10:11]
	v_mov_b32_e32 v8, 0
	ds_read_b64 v[2:3], v8 offset:23048
	v_mov_b32_e32 v6, 0
	v_mov_b32_e32 v7, 0
	s_waitcnt lgkmcnt(0)
	v_xor_b32_e32 v3, 0x80000000, v3
	ds_write_b64 v8, v[2:3] offset:23048
	v_mov_b32_e32 v2, v6
	v_mov_b32_e32 v3, v7
.LBB0_17:
	s_or_b64 exec, exec, s[4:5]
	s_waitcnt lgkmcnt(0)
	v_mov_b32_e32 v9, s7
	v_add_co_u32_e32 v8, vcc, s6, v14
	v_addc_co_u32_e32 v9, vcc, v9, v15, vcc
	global_load_dwordx4 v[8:11], v[8:9], off
	v_mov_b32_e32 v14, s7
	v_add_co_u32_e32 v12, vcc, s6, v12
	v_addc_co_u32_e32 v13, vcc, v14, v13, vcc
	global_load_dwordx4 v[12:15], v[12:13], off
	ds_write_b128 v122, v[4:7]
	ds_write_b128 v48, v[0:3] offset:46080
	v_add_u32_e32 v58, v124, v50
	ds_read_b128 v[0:3], v58
	ds_read_b128 v[4:7], v48 offset:44544
	v_mov_b32_e32 v59, s7
	s_waitcnt lgkmcnt(0)
	v_add_f64 v[50:51], v[0:1], -v[4:5]
	v_add_f64 v[52:53], v[2:3], v[6:7]
	v_add_f64 v[2:3], v[2:3], -v[6:7]
	v_add_f64 v[0:1], v[0:1], v[4:5]
	v_mul_f64 v[50:51], v[50:51], 0.5
	v_mul_f64 v[52:53], v[52:53], 0.5
	;; [unrolled: 1-line block ×3, first 2 shown]
	s_waitcnt vmcnt(1)
	v_mul_f64 v[4:5], v[50:51], v[10:11]
	v_fma_f64 v[6:7], v[52:53], v[10:11], v[2:3]
	v_fma_f64 v[10:11], v[52:53], v[10:11], -v[2:3]
	v_fma_f64 v[54:55], v[0:1], 0.5, v[4:5]
	v_fma_f64 v[56:57], v[0:1], 0.5, -v[4:5]
	v_add_co_u32_e32 v0, vcc, s6, v22
	v_addc_co_u32_e32 v1, vcc, v59, v23, vcc
	global_load_dwordx4 v[0:3], v[0:1], off
	v_fma_f64 v[6:7], -v[8:9], v[50:51], v[6:7]
	v_fma_f64 v[4:5], v[52:53], v[8:9], v[54:55]
	v_fma_f64 v[10:11], -v[8:9], v[50:51], v[10:11]
	v_fma_f64 v[8:9], -v[52:53], v[8:9], v[56:57]
	v_add_u32_e32 v55, v87, v49
	v_mov_b32_e32 v56, s7
	ds_write_b128 v58, v[4:7]
	ds_write_b128 v48, v[8:11] offset:44544
	ds_read_b128 v[4:7], v55
	ds_read_b128 v[8:11], v48 offset:43008
	s_waitcnt lgkmcnt(0)
	v_add_f64 v[22:23], v[4:5], -v[8:9]
	v_add_f64 v[49:50], v[6:7], v[10:11]
	v_add_f64 v[6:7], v[6:7], -v[10:11]
	v_add_f64 v[4:5], v[4:5], v[8:9]
	v_mul_f64 v[22:23], v[22:23], 0.5
	v_mul_f64 v[49:50], v[49:50], 0.5
	;; [unrolled: 1-line block ×3, first 2 shown]
	s_waitcnt vmcnt(1)
	v_mul_f64 v[8:9], v[22:23], v[14:15]
	v_fma_f64 v[10:11], v[49:50], v[14:15], v[6:7]
	v_fma_f64 v[14:15], v[49:50], v[14:15], -v[6:7]
	v_fma_f64 v[51:52], v[4:5], 0.5, v[8:9]
	v_fma_f64 v[53:54], v[4:5], 0.5, -v[8:9]
	v_add_co_u32_e32 v4, vcc, s6, v20
	v_addc_co_u32_e32 v5, vcc, v56, v21, vcc
	global_load_dwordx4 v[4:7], v[4:5], off
	v_fma_f64 v[10:11], -v[12:13], v[22:23], v[10:11]
	v_fma_f64 v[8:9], v[49:50], v[12:13], v[51:52]
	v_fma_f64 v[14:15], -v[12:13], v[22:23], v[14:15]
	v_fma_f64 v[12:13], -v[49:50], v[12:13], v[53:54]
	v_mov_b32_e32 v53, s7
	ds_write_b128 v55, v[8:11]
	ds_write_b128 v48, v[12:15] offset:43008
	ds_read_b128 v[8:11], v127
	ds_read_b128 v[12:15], v48 offset:41472
	s_waitcnt lgkmcnt(0)
	v_add_f64 v[20:21], v[8:9], -v[12:13]
	v_add_f64 v[22:23], v[10:11], v[14:15]
	v_add_f64 v[10:11], v[10:11], -v[14:15]
	v_add_f64 v[8:9], v[8:9], v[12:13]
	v_mul_f64 v[20:21], v[20:21], 0.5
	v_mul_f64 v[22:23], v[22:23], 0.5
	;; [unrolled: 1-line block ×3, first 2 shown]
	s_waitcnt vmcnt(1)
	v_mul_f64 v[12:13], v[20:21], v[2:3]
	v_fma_f64 v[14:15], v[22:23], v[2:3], v[10:11]
	v_fma_f64 v[2:3], v[22:23], v[2:3], -v[10:11]
	v_fma_f64 v[49:50], v[8:9], 0.5, v[12:13]
	v_fma_f64 v[51:52], v[8:9], 0.5, -v[12:13]
	v_add_co_u32_e32 v8, vcc, s6, v18
	v_addc_co_u32_e32 v9, vcc, v53, v19, vcc
	global_load_dwordx4 v[8:11], v[8:9], off
	v_fma_f64 v[14:15], -v[0:1], v[20:21], v[14:15]
	v_fma_f64 v[12:13], v[22:23], v[0:1], v[49:50]
	v_fma_f64 v[2:3], -v[0:1], v[20:21], v[2:3]
	v_fma_f64 v[0:1], -v[22:23], v[0:1], v[51:52]
	ds_write_b128 v127, v[12:15]
	ds_write_b128 v48, v[0:3] offset:41472
	ds_read_b128 v[0:3], v126
	ds_read_b128 v[12:15], v48 offset:39936
	v_mov_b32_e32 v51, s7
	s_waitcnt lgkmcnt(0)
	v_add_f64 v[18:19], v[0:1], -v[12:13]
	v_add_f64 v[20:21], v[2:3], v[14:15]
	v_add_f64 v[2:3], v[2:3], -v[14:15]
	v_add_f64 v[0:1], v[0:1], v[12:13]
	v_mul_f64 v[18:19], v[18:19], 0.5
	v_mul_f64 v[20:21], v[20:21], 0.5
	;; [unrolled: 1-line block ×3, first 2 shown]
	s_waitcnt vmcnt(1)
	v_mul_f64 v[12:13], v[18:19], v[6:7]
	v_fma_f64 v[14:15], v[20:21], v[6:7], v[2:3]
	v_fma_f64 v[6:7], v[20:21], v[6:7], -v[2:3]
	v_fma_f64 v[22:23], v[0:1], 0.5, v[12:13]
	v_fma_f64 v[49:50], v[0:1], 0.5, -v[12:13]
	v_add_co_u32_e32 v0, vcc, s6, v16
	v_addc_co_u32_e32 v1, vcc, v51, v17, vcc
	global_load_dwordx4 v[0:3], v[0:1], off
	v_fma_f64 v[14:15], -v[4:5], v[18:19], v[14:15]
	v_fma_f64 v[12:13], v[20:21], v[4:5], v[22:23]
	v_fma_f64 v[6:7], -v[4:5], v[18:19], v[6:7]
	v_fma_f64 v[4:5], -v[20:21], v[4:5], v[49:50]
	ds_write_b128 v126, v[12:15]
	ds_write_b128 v48, v[4:7] offset:39936
	ds_read_b128 v[4:7], v125
	ds_read_b128 v[12:15], v48 offset:38400
	v_mov_b32_e32 v49, s7
	s_waitcnt lgkmcnt(0)
	v_add_f64 v[16:17], v[4:5], -v[12:13]
	v_add_f64 v[18:19], v[6:7], v[14:15]
	v_add_f64 v[6:7], v[6:7], -v[14:15]
	v_add_f64 v[4:5], v[4:5], v[12:13]
	v_mul_f64 v[14:15], v[16:17], 0.5
	v_mul_f64 v[18:19], v[18:19], 0.5
	;; [unrolled: 1-line block ×3, first 2 shown]
	s_waitcnt vmcnt(1)
	v_mul_f64 v[12:13], v[14:15], v[10:11]
	v_fma_f64 v[16:17], v[18:19], v[10:11], v[6:7]
	v_fma_f64 v[10:11], v[18:19], v[10:11], -v[6:7]
	v_fma_f64 v[20:21], v[4:5], 0.5, v[12:13]
	v_fma_f64 v[22:23], v[4:5], 0.5, -v[12:13]
	v_add_co_u32_e32 v4, vcc, s6, v38
	v_addc_co_u32_e32 v5, vcc, v49, v39, vcc
	global_load_dwordx4 v[4:7], v[4:5], off
	v_fma_f64 v[12:13], -v[8:9], v[14:15], v[16:17]
	v_fma_f64 v[16:17], -v[8:9], v[14:15], v[10:11]
	v_fma_f64 v[10:11], v[18:19], v[8:9], v[20:21]
	v_fma_f64 v[14:15], -v[18:19], v[8:9], v[22:23]
	ds_write_b128 v125, v[10:13]
	ds_write_b128 v48, v[14:17] offset:38400
	ds_read_b128 v[8:11], v47
	ds_read_b128 v[12:15], v48 offset:36864
	v_mov_b32_e32 v38, s7
	s_waitcnt lgkmcnt(0)
	v_add_f64 v[16:17], v[8:9], -v[12:13]
	v_add_f64 v[18:19], v[10:11], v[14:15]
	v_add_f64 v[10:11], v[10:11], -v[14:15]
	v_add_f64 v[8:9], v[8:9], v[12:13]
	v_mul_f64 v[16:17], v[16:17], 0.5
	v_mul_f64 v[18:19], v[18:19], 0.5
	;; [unrolled: 1-line block ×3, first 2 shown]
	s_waitcnt vmcnt(1)
	v_mul_f64 v[12:13], v[16:17], v[2:3]
	v_fma_f64 v[14:15], v[18:19], v[2:3], v[10:11]
	v_fma_f64 v[2:3], v[18:19], v[2:3], -v[10:11]
	v_fma_f64 v[20:21], v[8:9], 0.5, v[12:13]
	v_fma_f64 v[22:23], v[8:9], 0.5, -v[12:13]
	v_add_co_u32_e32 v8, vcc, s6, v36
	v_addc_co_u32_e32 v9, vcc, v38, v37, vcc
	global_load_dwordx4 v[8:11], v[8:9], off
	v_fma_f64 v[14:15], -v[0:1], v[16:17], v[14:15]
	v_fma_f64 v[12:13], v[18:19], v[0:1], v[20:21]
	v_fma_f64 v[2:3], -v[0:1], v[16:17], v[2:3]
	v_fma_f64 v[0:1], -v[18:19], v[0:1], v[22:23]
	ds_write_b128 v47, v[12:15]
	ds_write_b128 v48, v[0:3] offset:36864
	ds_read_b128 v[0:3], v46
	ds_read_b128 v[12:15], v48 offset:35328
	v_mov_b32_e32 v36, s7
	s_waitcnt lgkmcnt(0)
	v_add_f64 v[16:17], v[0:1], -v[12:13]
	v_add_f64 v[18:19], v[2:3], v[14:15]
	v_add_f64 v[2:3], v[2:3], -v[14:15]
	v_add_f64 v[0:1], v[0:1], v[12:13]
	v_mul_f64 v[16:17], v[16:17], 0.5
	v_mul_f64 v[18:19], v[18:19], 0.5
	;; [unrolled: 1-line block ×3, first 2 shown]
	s_waitcnt vmcnt(1)
	v_mul_f64 v[12:13], v[16:17], v[6:7]
	v_fma_f64 v[14:15], v[18:19], v[6:7], v[2:3]
	v_fma_f64 v[6:7], v[18:19], v[6:7], -v[2:3]
	v_fma_f64 v[20:21], v[0:1], 0.5, v[12:13]
	v_fma_f64 v[22:23], v[0:1], 0.5, -v[12:13]
	v_add_co_u32_e32 v0, vcc, s6, v34
	v_addc_co_u32_e32 v1, vcc, v36, v35, vcc
	global_load_dwordx4 v[0:3], v[0:1], off
	v_fma_f64 v[14:15], -v[4:5], v[16:17], v[14:15]
	v_fma_f64 v[12:13], v[18:19], v[4:5], v[20:21]
	v_fma_f64 v[6:7], -v[4:5], v[16:17], v[6:7]
	v_fma_f64 v[4:5], -v[18:19], v[4:5], v[22:23]
	ds_write_b128 v46, v[12:15]
	ds_write_b128 v48, v[4:7] offset:35328
	ds_read_b128 v[4:7], v45
	ds_read_b128 v[12:15], v48 offset:33792
	v_mov_b32_e32 v34, s7
	s_waitcnt lgkmcnt(0)
	v_add_f64 v[16:17], v[4:5], -v[12:13]
	v_add_f64 v[18:19], v[6:7], v[14:15]
	v_add_f64 v[6:7], v[6:7], -v[14:15]
	v_add_f64 v[4:5], v[4:5], v[12:13]
	v_mul_f64 v[14:15], v[16:17], 0.5
	v_mul_f64 v[18:19], v[18:19], 0.5
	;; [unrolled: 1-line block ×3, first 2 shown]
	s_waitcnt vmcnt(1)
	v_mul_f64 v[12:13], v[14:15], v[10:11]
	v_fma_f64 v[16:17], v[18:19], v[10:11], v[6:7]
	v_fma_f64 v[10:11], v[18:19], v[10:11], -v[6:7]
	v_fma_f64 v[20:21], v[4:5], 0.5, v[12:13]
	v_fma_f64 v[22:23], v[4:5], 0.5, -v[12:13]
	v_add_co_u32_e32 v4, vcc, s6, v32
	v_addc_co_u32_e32 v5, vcc, v34, v33, vcc
	global_load_dwordx4 v[4:7], v[4:5], off
	v_fma_f64 v[12:13], -v[8:9], v[14:15], v[16:17]
	v_fma_f64 v[16:17], -v[8:9], v[14:15], v[10:11]
	v_fma_f64 v[10:11], v[18:19], v[8:9], v[20:21]
	v_fma_f64 v[14:15], -v[18:19], v[8:9], v[22:23]
	ds_write_b128 v45, v[10:13]
	ds_write_b128 v48, v[14:17] offset:33792
	ds_read_b128 v[8:11], v44
	ds_read_b128 v[12:15], v48 offset:32256
	v_mov_b32_e32 v32, s7
	s_waitcnt lgkmcnt(0)
	v_add_f64 v[16:17], v[8:9], -v[12:13]
	v_add_f64 v[18:19], v[10:11], v[14:15]
	v_add_f64 v[10:11], v[10:11], -v[14:15]
	v_add_f64 v[8:9], v[8:9], v[12:13]
	v_mul_f64 v[16:17], v[16:17], 0.5
	v_mul_f64 v[18:19], v[18:19], 0.5
	;; [unrolled: 1-line block ×3, first 2 shown]
	s_waitcnt vmcnt(1)
	v_mul_f64 v[12:13], v[16:17], v[2:3]
	v_fma_f64 v[14:15], v[18:19], v[2:3], v[10:11]
	v_fma_f64 v[2:3], v[18:19], v[2:3], -v[10:11]
	v_fma_f64 v[20:21], v[8:9], 0.5, v[12:13]
	v_fma_f64 v[22:23], v[8:9], 0.5, -v[12:13]
	v_add_co_u32_e32 v8, vcc, s6, v30
	v_addc_co_u32_e32 v9, vcc, v32, v31, vcc
	global_load_dwordx4 v[8:11], v[8:9], off
	v_fma_f64 v[14:15], -v[0:1], v[16:17], v[14:15]
	v_fma_f64 v[12:13], v[18:19], v[0:1], v[20:21]
	v_fma_f64 v[2:3], -v[0:1], v[16:17], v[2:3]
	v_fma_f64 v[0:1], -v[18:19], v[0:1], v[22:23]
	ds_write_b128 v44, v[12:15]
	ds_write_b128 v48, v[0:3] offset:32256
	ds_read_b128 v[0:3], v86
	ds_read_b128 v[12:15], v48 offset:30720
	v_mov_b32_e32 v30, s7
	s_waitcnt lgkmcnt(0)
	v_add_f64 v[16:17], v[0:1], -v[12:13]
	v_add_f64 v[18:19], v[2:3], v[14:15]
	v_add_f64 v[2:3], v[2:3], -v[14:15]
	v_add_f64 v[0:1], v[0:1], v[12:13]
	v_mul_f64 v[16:17], v[16:17], 0.5
	v_mul_f64 v[18:19], v[18:19], 0.5
	;; [unrolled: 1-line block ×3, first 2 shown]
	s_waitcnt vmcnt(1)
	v_mul_f64 v[12:13], v[16:17], v[6:7]
	v_fma_f64 v[14:15], v[18:19], v[6:7], v[2:3]
	v_fma_f64 v[6:7], v[18:19], v[6:7], -v[2:3]
	v_fma_f64 v[20:21], v[0:1], 0.5, v[12:13]
	v_fma_f64 v[22:23], v[0:1], 0.5, -v[12:13]
	v_add_co_u32_e32 v0, vcc, s6, v28
	v_addc_co_u32_e32 v1, vcc, v30, v29, vcc
	global_load_dwordx4 v[0:3], v[0:1], off
	v_fma_f64 v[14:15], -v[4:5], v[16:17], v[14:15]
	v_fma_f64 v[12:13], v[18:19], v[4:5], v[20:21]
	v_fma_f64 v[6:7], -v[4:5], v[16:17], v[6:7]
	v_fma_f64 v[4:5], -v[18:19], v[4:5], v[22:23]
	ds_write_b128 v86, v[12:15]
	ds_write_b128 v48, v[4:7] offset:30720
	ds_read_b128 v[4:7], v43
	ds_read_b128 v[12:15], v48 offset:29184
	v_mov_b32_e32 v28, s7
	s_waitcnt lgkmcnt(0)
	v_add_f64 v[16:17], v[4:5], -v[12:13]
	v_add_f64 v[18:19], v[6:7], v[14:15]
	v_add_f64 v[6:7], v[6:7], -v[14:15]
	v_add_f64 v[4:5], v[4:5], v[12:13]
	v_mul_f64 v[14:15], v[16:17], 0.5
	v_mul_f64 v[18:19], v[18:19], 0.5
	;; [unrolled: 1-line block ×3, first 2 shown]
	s_waitcnt vmcnt(1)
	v_mul_f64 v[12:13], v[14:15], v[10:11]
	v_fma_f64 v[16:17], v[18:19], v[10:11], v[6:7]
	v_fma_f64 v[10:11], v[18:19], v[10:11], -v[6:7]
	v_fma_f64 v[20:21], v[4:5], 0.5, v[12:13]
	v_fma_f64 v[22:23], v[4:5], 0.5, -v[12:13]
	v_add_co_u32_e32 v4, vcc, s6, v26
	v_addc_co_u32_e32 v5, vcc, v28, v27, vcc
	global_load_dwordx4 v[4:7], v[4:5], off
	v_fma_f64 v[12:13], -v[8:9], v[14:15], v[16:17]
	v_fma_f64 v[16:17], -v[8:9], v[14:15], v[10:11]
	v_fma_f64 v[10:11], v[18:19], v[8:9], v[20:21]
	v_fma_f64 v[14:15], -v[18:19], v[8:9], v[22:23]
	ds_write_b128 v43, v[10:13]
	ds_write_b128 v48, v[14:17] offset:29184
	ds_read_b128 v[8:11], v42
	ds_read_b128 v[12:15], v48 offset:27648
	v_mov_b32_e32 v26, s7
	s_waitcnt lgkmcnt(0)
	v_add_f64 v[16:17], v[8:9], -v[12:13]
	v_add_f64 v[18:19], v[10:11], v[14:15]
	v_add_f64 v[10:11], v[10:11], -v[14:15]
	v_add_f64 v[8:9], v[8:9], v[12:13]
	v_mul_f64 v[16:17], v[16:17], 0.5
	v_mul_f64 v[18:19], v[18:19], 0.5
	;; [unrolled: 1-line block ×3, first 2 shown]
	s_waitcnt vmcnt(1)
	v_mul_f64 v[12:13], v[16:17], v[2:3]
	v_fma_f64 v[14:15], v[18:19], v[2:3], v[10:11]
	v_fma_f64 v[2:3], v[18:19], v[2:3], -v[10:11]
	v_fma_f64 v[20:21], v[8:9], 0.5, v[12:13]
	v_fma_f64 v[22:23], v[8:9], 0.5, -v[12:13]
	v_add_co_u32_e32 v8, vcc, s6, v24
	v_addc_co_u32_e32 v9, vcc, v26, v25, vcc
	global_load_dwordx4 v[8:11], v[8:9], off
	v_fma_f64 v[14:15], -v[0:1], v[16:17], v[14:15]
	v_fma_f64 v[12:13], v[18:19], v[0:1], v[20:21]
	v_fma_f64 v[2:3], -v[0:1], v[16:17], v[2:3]
	v_fma_f64 v[0:1], -v[18:19], v[0:1], v[22:23]
	ds_write_b128 v42, v[12:15]
	ds_write_b128 v48, v[0:3] offset:27648
	ds_read_b128 v[0:3], v41
	ds_read_b128 v[12:15], v48 offset:26112
	s_waitcnt lgkmcnt(0)
	v_add_f64 v[16:17], v[0:1], -v[12:13]
	v_add_f64 v[18:19], v[2:3], v[14:15]
	v_add_f64 v[2:3], v[2:3], -v[14:15]
	v_add_f64 v[0:1], v[0:1], v[12:13]
	v_mul_f64 v[14:15], v[16:17], 0.5
	v_mul_f64 v[16:17], v[18:19], 0.5
	;; [unrolled: 1-line block ×3, first 2 shown]
	s_waitcnt vmcnt(1)
	v_mul_f64 v[12:13], v[14:15], v[6:7]
	v_fma_f64 v[18:19], v[16:17], v[6:7], v[2:3]
	v_fma_f64 v[6:7], v[16:17], v[6:7], -v[2:3]
	v_fma_f64 v[20:21], v[0:1], 0.5, v[12:13]
	v_fma_f64 v[12:13], v[0:1], 0.5, -v[12:13]
	v_fma_f64 v[2:3], -v[4:5], v[14:15], v[18:19]
	v_fma_f64 v[6:7], -v[4:5], v[14:15], v[6:7]
	v_fma_f64 v[0:1], v[16:17], v[4:5], v[20:21]
	v_fma_f64 v[4:5], -v[16:17], v[4:5], v[12:13]
	ds_write_b128 v41, v[0:3]
	ds_write_b128 v48, v[4:7] offset:26112
	ds_read_b128 v[0:3], v40
	ds_read_b128 v[4:7], v48 offset:24576
	s_waitcnt lgkmcnt(0)
	v_add_f64 v[12:13], v[0:1], -v[4:5]
	v_add_f64 v[14:15], v[2:3], v[6:7]
	v_add_f64 v[2:3], v[2:3], -v[6:7]
	v_add_f64 v[0:1], v[0:1], v[4:5]
	v_mul_f64 v[6:7], v[12:13], 0.5
	v_mul_f64 v[12:13], v[14:15], 0.5
	;; [unrolled: 1-line block ×3, first 2 shown]
	s_waitcnt vmcnt(0)
	v_mul_f64 v[4:5], v[6:7], v[10:11]
	v_fma_f64 v[14:15], v[12:13], v[10:11], v[2:3]
	v_fma_f64 v[10:11], v[12:13], v[10:11], -v[2:3]
	v_fma_f64 v[16:17], v[0:1], 0.5, v[4:5]
	v_fma_f64 v[4:5], v[0:1], 0.5, -v[4:5]
	v_fma_f64 v[2:3], -v[8:9], v[6:7], v[14:15]
	v_fma_f64 v[6:7], -v[8:9], v[6:7], v[10:11]
	v_fma_f64 v[0:1], v[12:13], v[8:9], v[16:17]
	v_fma_f64 v[4:5], -v[12:13], v[8:9], v[4:5]
	ds_write_b128 v40, v[0:3]
	ds_write_b128 v48, v[4:7] offset:24576
	s_waitcnt lgkmcnt(0)
	s_barrier
	s_and_saveexec_b64 s[4:5], s[0:1]
	s_cbranch_execz .LBB0_20
; %bb.18:
	v_mul_lo_u32 v2, s3, v92
	v_mul_lo_u32 v3, s2, v93
	v_mad_u64_u32 v[0:1], s[0:1], s2, v92, 0
	v_mov_b32_e32 v6, s11
	v_lshl_add_u32 v12, v88, 4, 0
	v_add3_u32 v1, v1, v3, v2
	v_lshlrev_b64 v[0:1], 4, v[0:1]
	v_mov_b32_e32 v89, 0
	v_add_co_u32_e32 v0, vcc, s10, v0
	v_addc_co_u32_e32 v8, vcc, v6, v1, vcc
	v_lshlrev_b64 v[6:7], 4, v[90:91]
	ds_read_b128 v[2:5], v12
	v_add_co_u32_e32 v1, vcc, v0, v6
	v_addc_co_u32_e32 v0, vcc, v8, v7, vcc
	v_lshlrev_b64 v[6:7], 4, v[88:89]
	s_movk_i32 s0, 0x5f
	v_add_co_u32_e32 v10, vcc, v1, v6
	v_addc_co_u32_e32 v11, vcc, v0, v7, vcc
	ds_read_b128 v[6:9], v12 offset:1536
	s_waitcnt lgkmcnt(1)
	global_store_dwordx4 v[10:11], v[2:5], off
	s_nop 0
	v_add_u32_e32 v2, 0x60, v88
	v_mov_b32_e32 v3, v89
	v_lshlrev_b64 v[2:3], 4, v[2:3]
	v_add_co_u32_e32 v2, vcc, v1, v2
	v_addc_co_u32_e32 v3, vcc, v0, v3, vcc
	s_waitcnt lgkmcnt(0)
	global_store_dwordx4 v[2:3], v[6:9], off
	ds_read_b128 v[2:5], v12 offset:3072
	v_add_u32_e32 v6, 0xc0, v88
	v_mov_b32_e32 v7, v89
	v_lshlrev_b64 v[6:7], 4, v[6:7]
	v_add_co_u32_e32 v10, vcc, v1, v6
	v_addc_co_u32_e32 v11, vcc, v0, v7, vcc
	ds_read_b128 v[6:9], v12 offset:4608
	s_waitcnt lgkmcnt(1)
	global_store_dwordx4 v[10:11], v[2:5], off
	s_nop 0
	v_add_u32_e32 v2, 0x120, v88
	v_mov_b32_e32 v3, v89
	v_lshlrev_b64 v[2:3], 4, v[2:3]
	v_add_co_u32_e32 v2, vcc, v1, v2
	v_addc_co_u32_e32 v3, vcc, v0, v3, vcc
	s_waitcnt lgkmcnt(0)
	global_store_dwordx4 v[2:3], v[6:9], off
	ds_read_b128 v[2:5], v12 offset:6144
	v_add_u32_e32 v6, 0x180, v88
	v_mov_b32_e32 v7, v89
	v_lshlrev_b64 v[6:7], 4, v[6:7]
	;; [unrolled: 17-line block ×14, first 2 shown]
	v_add_co_u32_e32 v10, vcc, v1, v6
	v_addc_co_u32_e32 v11, vcc, v0, v7, vcc
	ds_read_b128 v[6:9], v12 offset:44544
	s_waitcnt lgkmcnt(1)
	global_store_dwordx4 v[10:11], v[2:5], off
	s_nop 0
	v_add_u32_e32 v2, 0xae0, v88
	v_mov_b32_e32 v3, v89
	v_lshlrev_b64 v[2:3], 4, v[2:3]
	v_add_co_u32_e32 v2, vcc, v1, v2
	v_addc_co_u32_e32 v3, vcc, v0, v3, vcc
	v_cmp_eq_u32_e32 vcc, s0, v88
	s_waitcnt lgkmcnt(0)
	global_store_dwordx4 v[2:3], v[6:9], off
	s_and_b64 exec, exec, vcc
	s_cbranch_execz .LBB0_20
; %bb.19:
	ds_read_b128 v[2:5], v89 offset:46080
	v_add_co_u32_e32 v6, vcc, 0xb000, v1
	v_addc_co_u32_e32 v7, vcc, 0, v0, vcc
	s_waitcnt lgkmcnt(0)
	global_store_dwordx4 v[6:7], v[2:5], off offset:1024
.LBB0_20:
	s_endpgm
	.section	.rodata,"a",@progbits
	.p2align	6, 0x0
	.amdhsa_kernel fft_rtc_fwd_len2880_factors_10_6_6_2_2_2_wgs_96_tpt_96_halfLds_dp_op_CI_CI_unitstride_sbrr_R2C_dirReg
		.amdhsa_group_segment_fixed_size 0
		.amdhsa_private_segment_fixed_size 0
		.amdhsa_kernarg_size 104
		.amdhsa_user_sgpr_count 6
		.amdhsa_user_sgpr_private_segment_buffer 1
		.amdhsa_user_sgpr_dispatch_ptr 0
		.amdhsa_user_sgpr_queue_ptr 0
		.amdhsa_user_sgpr_kernarg_segment_ptr 1
		.amdhsa_user_sgpr_dispatch_id 0
		.amdhsa_user_sgpr_flat_scratch_init 0
		.amdhsa_user_sgpr_private_segment_size 0
		.amdhsa_uses_dynamic_stack 0
		.amdhsa_system_sgpr_private_segment_wavefront_offset 0
		.amdhsa_system_sgpr_workgroup_id_x 1
		.amdhsa_system_sgpr_workgroup_id_y 0
		.amdhsa_system_sgpr_workgroup_id_z 0
		.amdhsa_system_sgpr_workgroup_info 0
		.amdhsa_system_vgpr_workitem_id 0
		.amdhsa_next_free_vgpr 216
		.amdhsa_next_free_sgpr 28
		.amdhsa_reserve_vcc 1
		.amdhsa_reserve_flat_scratch 0
		.amdhsa_float_round_mode_32 0
		.amdhsa_float_round_mode_16_64 0
		.amdhsa_float_denorm_mode_32 3
		.amdhsa_float_denorm_mode_16_64 3
		.amdhsa_dx10_clamp 1
		.amdhsa_ieee_mode 1
		.amdhsa_fp16_overflow 0
		.amdhsa_exception_fp_ieee_invalid_op 0
		.amdhsa_exception_fp_denorm_src 0
		.amdhsa_exception_fp_ieee_div_zero 0
		.amdhsa_exception_fp_ieee_overflow 0
		.amdhsa_exception_fp_ieee_underflow 0
		.amdhsa_exception_fp_ieee_inexact 0
		.amdhsa_exception_int_div_zero 0
	.end_amdhsa_kernel
	.text
.Lfunc_end0:
	.size	fft_rtc_fwd_len2880_factors_10_6_6_2_2_2_wgs_96_tpt_96_halfLds_dp_op_CI_CI_unitstride_sbrr_R2C_dirReg, .Lfunc_end0-fft_rtc_fwd_len2880_factors_10_6_6_2_2_2_wgs_96_tpt_96_halfLds_dp_op_CI_CI_unitstride_sbrr_R2C_dirReg
                                        ; -- End function
	.section	.AMDGPU.csdata,"",@progbits
; Kernel info:
; codeLenInByte = 25140
; NumSgprs: 32
; NumVgprs: 216
; ScratchSize: 0
; MemoryBound: 0
; FloatMode: 240
; IeeeMode: 1
; LDSByteSize: 0 bytes/workgroup (compile time only)
; SGPRBlocks: 3
; VGPRBlocks: 53
; NumSGPRsForWavesPerEU: 32
; NumVGPRsForWavesPerEU: 216
; Occupancy: 1
; WaveLimiterHint : 1
; COMPUTE_PGM_RSRC2:SCRATCH_EN: 0
; COMPUTE_PGM_RSRC2:USER_SGPR: 6
; COMPUTE_PGM_RSRC2:TRAP_HANDLER: 0
; COMPUTE_PGM_RSRC2:TGID_X_EN: 1
; COMPUTE_PGM_RSRC2:TGID_Y_EN: 0
; COMPUTE_PGM_RSRC2:TGID_Z_EN: 0
; COMPUTE_PGM_RSRC2:TIDIG_COMP_CNT: 0
	.type	__hip_cuid_91c7f66b1d09736,@object ; @__hip_cuid_91c7f66b1d09736
	.section	.bss,"aw",@nobits
	.globl	__hip_cuid_91c7f66b1d09736
__hip_cuid_91c7f66b1d09736:
	.byte	0                               ; 0x0
	.size	__hip_cuid_91c7f66b1d09736, 1

	.ident	"AMD clang version 19.0.0git (https://github.com/RadeonOpenCompute/llvm-project roc-6.4.0 25133 c7fe45cf4b819c5991fe208aaa96edf142730f1d)"
	.section	".note.GNU-stack","",@progbits
	.addrsig
	.addrsig_sym __hip_cuid_91c7f66b1d09736
	.amdgpu_metadata
---
amdhsa.kernels:
  - .args:
      - .actual_access:  read_only
        .address_space:  global
        .offset:         0
        .size:           8
        .value_kind:     global_buffer
      - .offset:         8
        .size:           8
        .value_kind:     by_value
      - .actual_access:  read_only
        .address_space:  global
        .offset:         16
        .size:           8
        .value_kind:     global_buffer
      - .actual_access:  read_only
        .address_space:  global
        .offset:         24
        .size:           8
        .value_kind:     global_buffer
      - .actual_access:  read_only
        .address_space:  global
        .offset:         32
        .size:           8
        .value_kind:     global_buffer
      - .offset:         40
        .size:           8
        .value_kind:     by_value
      - .actual_access:  read_only
        .address_space:  global
        .offset:         48
        .size:           8
        .value_kind:     global_buffer
      - .actual_access:  read_only
        .address_space:  global
        .offset:         56
        .size:           8
        .value_kind:     global_buffer
      - .offset:         64
        .size:           4
        .value_kind:     by_value
      - .actual_access:  read_only
        .address_space:  global
        .offset:         72
        .size:           8
        .value_kind:     global_buffer
      - .actual_access:  read_only
        .address_space:  global
        .offset:         80
        .size:           8
        .value_kind:     global_buffer
      - .actual_access:  read_only
        .address_space:  global
        .offset:         88
        .size:           8
        .value_kind:     global_buffer
      - .actual_access:  write_only
        .address_space:  global
        .offset:         96
        .size:           8
        .value_kind:     global_buffer
    .group_segment_fixed_size: 0
    .kernarg_segment_align: 8
    .kernarg_segment_size: 104
    .language:       OpenCL C
    .language_version:
      - 2
      - 0
    .max_flat_workgroup_size: 96
    .name:           fft_rtc_fwd_len2880_factors_10_6_6_2_2_2_wgs_96_tpt_96_halfLds_dp_op_CI_CI_unitstride_sbrr_R2C_dirReg
    .private_segment_fixed_size: 0
    .sgpr_count:     32
    .sgpr_spill_count: 0
    .symbol:         fft_rtc_fwd_len2880_factors_10_6_6_2_2_2_wgs_96_tpt_96_halfLds_dp_op_CI_CI_unitstride_sbrr_R2C_dirReg.kd
    .uniform_work_group_size: 1
    .uses_dynamic_stack: false
    .vgpr_count:     216
    .vgpr_spill_count: 0
    .wavefront_size: 64
amdhsa.target:   amdgcn-amd-amdhsa--gfx906
amdhsa.version:
  - 1
  - 2
...

	.end_amdgpu_metadata
